;; amdgpu-corpus repo=ROCm/rocFFT kind=compiled arch=gfx1100 opt=O3
	.text
	.amdgcn_target "amdgcn-amd-amdhsa--gfx1100"
	.amdhsa_code_object_version 6
	.protected	fft_rtc_back_len2430_factors_10_3_3_3_3_3_wgs_81_tpt_81_halfLds_half_ip_CI_unitstride_sbrr_R2C_dirReg ; -- Begin function fft_rtc_back_len2430_factors_10_3_3_3_3_3_wgs_81_tpt_81_halfLds_half_ip_CI_unitstride_sbrr_R2C_dirReg
	.globl	fft_rtc_back_len2430_factors_10_3_3_3_3_3_wgs_81_tpt_81_halfLds_half_ip_CI_unitstride_sbrr_R2C_dirReg
	.p2align	8
	.type	fft_rtc_back_len2430_factors_10_3_3_3_3_3_wgs_81_tpt_81_halfLds_half_ip_CI_unitstride_sbrr_R2C_dirReg,@function
fft_rtc_back_len2430_factors_10_3_3_3_3_3_wgs_81_tpt_81_halfLds_half_ip_CI_unitstride_sbrr_R2C_dirReg: ; @fft_rtc_back_len2430_factors_10_3_3_3_3_3_wgs_81_tpt_81_halfLds_half_ip_CI_unitstride_sbrr_R2C_dirReg
; %bb.0:
	s_clause 0x2
	s_load_b128 s[4:7], s[0:1], 0x0
	s_load_b64 s[8:9], s[0:1], 0x50
	s_load_b64 s[10:11], s[0:1], 0x18
	v_mul_u32_u24_e32 v1, 0x32a, v0
	v_mov_b32_e32 v3, 0
	v_mov_b32_e32 v4, 0
	s_delay_alu instid0(VALU_DEP_3) | instskip(SKIP_1) | instid1(VALU_DEP_1)
	v_lshrrev_b32_e32 v2, 16, v1
	v_mov_b32_e32 v1, 0
	v_dual_mov_b32 v6, v1 :: v_dual_add_nc_u32 v5, s15, v2
	s_waitcnt lgkmcnt(0)
	v_cmp_lt_u64_e64 s2, s[6:7], 2
	s_delay_alu instid0(VALU_DEP_1)
	s_and_b32 vcc_lo, exec_lo, s2
	s_cbranch_vccnz .LBB0_8
; %bb.1:
	s_load_b64 s[2:3], s[0:1], 0x10
	v_mov_b32_e32 v3, 0
	s_add_u32 s12, s10, 8
	v_mov_b32_e32 v4, 0
	s_addc_u32 s13, s11, 0
	s_mov_b64 s[16:17], 1
	s_waitcnt lgkmcnt(0)
	s_add_u32 s14, s2, 8
	s_addc_u32 s15, s3, 0
.LBB0_2:                                ; =>This Inner Loop Header: Depth=1
	s_load_b64 s[18:19], s[14:15], 0x0
                                        ; implicit-def: $vgpr14_vgpr15
	s_mov_b32 s2, exec_lo
	s_waitcnt lgkmcnt(0)
	v_or_b32_e32 v2, s19, v6
	s_delay_alu instid0(VALU_DEP_1)
	v_cmpx_ne_u64_e32 0, v[1:2]
	s_xor_b32 s3, exec_lo, s2
	s_cbranch_execz .LBB0_4
; %bb.3:                                ;   in Loop: Header=BB0_2 Depth=1
	v_cvt_f32_u32_e32 v2, s18
	v_cvt_f32_u32_e32 v7, s19
	s_sub_u32 s2, 0, s18
	s_subb_u32 s20, 0, s19
	s_delay_alu instid0(VALU_DEP_1) | instskip(NEXT) | instid1(VALU_DEP_1)
	v_fmac_f32_e32 v2, 0x4f800000, v7
	v_rcp_f32_e32 v2, v2
	s_waitcnt_depctr 0xfff
	v_mul_f32_e32 v2, 0x5f7ffffc, v2
	s_delay_alu instid0(VALU_DEP_1) | instskip(NEXT) | instid1(VALU_DEP_1)
	v_mul_f32_e32 v7, 0x2f800000, v2
	v_trunc_f32_e32 v7, v7
	s_delay_alu instid0(VALU_DEP_1) | instskip(SKIP_1) | instid1(VALU_DEP_2)
	v_fmac_f32_e32 v2, 0xcf800000, v7
	v_cvt_u32_f32_e32 v7, v7
	v_cvt_u32_f32_e32 v2, v2
	s_delay_alu instid0(VALU_DEP_2) | instskip(NEXT) | instid1(VALU_DEP_2)
	v_mul_lo_u32 v8, s2, v7
	v_mul_hi_u32 v9, s2, v2
	v_mul_lo_u32 v10, s20, v2
	s_delay_alu instid0(VALU_DEP_2) | instskip(SKIP_1) | instid1(VALU_DEP_2)
	v_add_nc_u32_e32 v8, v9, v8
	v_mul_lo_u32 v9, s2, v2
	v_add_nc_u32_e32 v8, v8, v10
	s_delay_alu instid0(VALU_DEP_2) | instskip(NEXT) | instid1(VALU_DEP_2)
	v_mul_hi_u32 v10, v2, v9
	v_mul_lo_u32 v11, v2, v8
	v_mul_hi_u32 v12, v2, v8
	v_mul_hi_u32 v13, v7, v9
	v_mul_lo_u32 v9, v7, v9
	v_mul_hi_u32 v14, v7, v8
	v_mul_lo_u32 v8, v7, v8
	v_add_co_u32 v10, vcc_lo, v10, v11
	v_add_co_ci_u32_e32 v11, vcc_lo, 0, v12, vcc_lo
	s_delay_alu instid0(VALU_DEP_2) | instskip(NEXT) | instid1(VALU_DEP_2)
	v_add_co_u32 v9, vcc_lo, v10, v9
	v_add_co_ci_u32_e32 v9, vcc_lo, v11, v13, vcc_lo
	v_add_co_ci_u32_e32 v10, vcc_lo, 0, v14, vcc_lo
	s_delay_alu instid0(VALU_DEP_2) | instskip(NEXT) | instid1(VALU_DEP_2)
	v_add_co_u32 v8, vcc_lo, v9, v8
	v_add_co_ci_u32_e32 v9, vcc_lo, 0, v10, vcc_lo
	s_delay_alu instid0(VALU_DEP_2) | instskip(NEXT) | instid1(VALU_DEP_2)
	v_add_co_u32 v2, vcc_lo, v2, v8
	v_add_co_ci_u32_e32 v7, vcc_lo, v7, v9, vcc_lo
	s_delay_alu instid0(VALU_DEP_2) | instskip(SKIP_1) | instid1(VALU_DEP_3)
	v_mul_hi_u32 v8, s2, v2
	v_mul_lo_u32 v10, s20, v2
	v_mul_lo_u32 v9, s2, v7
	s_delay_alu instid0(VALU_DEP_1) | instskip(SKIP_1) | instid1(VALU_DEP_2)
	v_add_nc_u32_e32 v8, v8, v9
	v_mul_lo_u32 v9, s2, v2
	v_add_nc_u32_e32 v8, v8, v10
	s_delay_alu instid0(VALU_DEP_2) | instskip(NEXT) | instid1(VALU_DEP_2)
	v_mul_hi_u32 v10, v2, v9
	v_mul_lo_u32 v11, v2, v8
	v_mul_hi_u32 v12, v2, v8
	v_mul_hi_u32 v13, v7, v9
	v_mul_lo_u32 v9, v7, v9
	v_mul_hi_u32 v14, v7, v8
	v_mul_lo_u32 v8, v7, v8
	v_add_co_u32 v10, vcc_lo, v10, v11
	v_add_co_ci_u32_e32 v11, vcc_lo, 0, v12, vcc_lo
	s_delay_alu instid0(VALU_DEP_2) | instskip(NEXT) | instid1(VALU_DEP_2)
	v_add_co_u32 v9, vcc_lo, v10, v9
	v_add_co_ci_u32_e32 v9, vcc_lo, v11, v13, vcc_lo
	v_add_co_ci_u32_e32 v10, vcc_lo, 0, v14, vcc_lo
	s_delay_alu instid0(VALU_DEP_2) | instskip(NEXT) | instid1(VALU_DEP_2)
	v_add_co_u32 v8, vcc_lo, v9, v8
	v_add_co_ci_u32_e32 v9, vcc_lo, 0, v10, vcc_lo
	s_delay_alu instid0(VALU_DEP_2) | instskip(NEXT) | instid1(VALU_DEP_2)
	v_add_co_u32 v2, vcc_lo, v2, v8
	v_add_co_ci_u32_e32 v13, vcc_lo, v7, v9, vcc_lo
	s_delay_alu instid0(VALU_DEP_2) | instskip(SKIP_1) | instid1(VALU_DEP_3)
	v_mul_hi_u32 v14, v5, v2
	v_mad_u64_u32 v[9:10], null, v6, v2, 0
	v_mad_u64_u32 v[7:8], null, v5, v13, 0
	;; [unrolled: 1-line block ×3, first 2 shown]
	s_delay_alu instid0(VALU_DEP_2) | instskip(NEXT) | instid1(VALU_DEP_3)
	v_add_co_u32 v2, vcc_lo, v14, v7
	v_add_co_ci_u32_e32 v7, vcc_lo, 0, v8, vcc_lo
	s_delay_alu instid0(VALU_DEP_2) | instskip(NEXT) | instid1(VALU_DEP_2)
	v_add_co_u32 v2, vcc_lo, v2, v9
	v_add_co_ci_u32_e32 v2, vcc_lo, v7, v10, vcc_lo
	v_add_co_ci_u32_e32 v7, vcc_lo, 0, v12, vcc_lo
	s_delay_alu instid0(VALU_DEP_2) | instskip(NEXT) | instid1(VALU_DEP_2)
	v_add_co_u32 v2, vcc_lo, v2, v11
	v_add_co_ci_u32_e32 v9, vcc_lo, 0, v7, vcc_lo
	s_delay_alu instid0(VALU_DEP_2) | instskip(SKIP_1) | instid1(VALU_DEP_3)
	v_mul_lo_u32 v10, s19, v2
	v_mad_u64_u32 v[7:8], null, s18, v2, 0
	v_mul_lo_u32 v11, s18, v9
	s_delay_alu instid0(VALU_DEP_2) | instskip(NEXT) | instid1(VALU_DEP_2)
	v_sub_co_u32 v7, vcc_lo, v5, v7
	v_add3_u32 v8, v8, v11, v10
	s_delay_alu instid0(VALU_DEP_1) | instskip(NEXT) | instid1(VALU_DEP_1)
	v_sub_nc_u32_e32 v10, v6, v8
	v_subrev_co_ci_u32_e64 v10, s2, s19, v10, vcc_lo
	v_add_co_u32 v11, s2, v2, 2
	s_delay_alu instid0(VALU_DEP_1) | instskip(SKIP_3) | instid1(VALU_DEP_3)
	v_add_co_ci_u32_e64 v12, s2, 0, v9, s2
	v_sub_co_u32 v13, s2, v7, s18
	v_sub_co_ci_u32_e32 v8, vcc_lo, v6, v8, vcc_lo
	v_subrev_co_ci_u32_e64 v10, s2, 0, v10, s2
	v_cmp_le_u32_e32 vcc_lo, s18, v13
	s_delay_alu instid0(VALU_DEP_3) | instskip(SKIP_1) | instid1(VALU_DEP_4)
	v_cmp_eq_u32_e64 s2, s19, v8
	v_cndmask_b32_e64 v13, 0, -1, vcc_lo
	v_cmp_le_u32_e32 vcc_lo, s19, v10
	v_cndmask_b32_e64 v14, 0, -1, vcc_lo
	v_cmp_le_u32_e32 vcc_lo, s18, v7
	;; [unrolled: 2-line block ×3, first 2 shown]
	v_cndmask_b32_e64 v15, 0, -1, vcc_lo
	v_cmp_eq_u32_e32 vcc_lo, s19, v10
	s_delay_alu instid0(VALU_DEP_2) | instskip(SKIP_3) | instid1(VALU_DEP_3)
	v_cndmask_b32_e64 v7, v15, v7, s2
	v_cndmask_b32_e32 v10, v14, v13, vcc_lo
	v_add_co_u32 v13, vcc_lo, v2, 1
	v_add_co_ci_u32_e32 v14, vcc_lo, 0, v9, vcc_lo
	v_cmp_ne_u32_e32 vcc_lo, 0, v10
	s_delay_alu instid0(VALU_DEP_2) | instskip(NEXT) | instid1(VALU_DEP_4)
	v_cndmask_b32_e32 v8, v14, v12, vcc_lo
	v_cndmask_b32_e32 v10, v13, v11, vcc_lo
	v_cmp_ne_u32_e32 vcc_lo, 0, v7
	s_delay_alu instid0(VALU_DEP_2)
	v_dual_cndmask_b32 v15, v9, v8 :: v_dual_cndmask_b32 v14, v2, v10
.LBB0_4:                                ;   in Loop: Header=BB0_2 Depth=1
	s_and_not1_saveexec_b32 s2, s3
	s_cbranch_execz .LBB0_6
; %bb.5:                                ;   in Loop: Header=BB0_2 Depth=1
	v_cvt_f32_u32_e32 v2, s18
	s_sub_i32 s3, 0, s18
	v_mov_b32_e32 v15, v1
	s_delay_alu instid0(VALU_DEP_2) | instskip(SKIP_2) | instid1(VALU_DEP_1)
	v_rcp_iflag_f32_e32 v2, v2
	s_waitcnt_depctr 0xfff
	v_mul_f32_e32 v2, 0x4f7ffffe, v2
	v_cvt_u32_f32_e32 v2, v2
	s_delay_alu instid0(VALU_DEP_1) | instskip(NEXT) | instid1(VALU_DEP_1)
	v_mul_lo_u32 v7, s3, v2
	v_mul_hi_u32 v7, v2, v7
	s_delay_alu instid0(VALU_DEP_1) | instskip(NEXT) | instid1(VALU_DEP_1)
	v_add_nc_u32_e32 v2, v2, v7
	v_mul_hi_u32 v2, v5, v2
	s_delay_alu instid0(VALU_DEP_1) | instskip(SKIP_1) | instid1(VALU_DEP_2)
	v_mul_lo_u32 v7, v2, s18
	v_add_nc_u32_e32 v8, 1, v2
	v_sub_nc_u32_e32 v7, v5, v7
	s_delay_alu instid0(VALU_DEP_1) | instskip(SKIP_1) | instid1(VALU_DEP_2)
	v_subrev_nc_u32_e32 v9, s18, v7
	v_cmp_le_u32_e32 vcc_lo, s18, v7
	v_dual_cndmask_b32 v7, v7, v9 :: v_dual_cndmask_b32 v2, v2, v8
	s_delay_alu instid0(VALU_DEP_1) | instskip(NEXT) | instid1(VALU_DEP_2)
	v_cmp_le_u32_e32 vcc_lo, s18, v7
	v_add_nc_u32_e32 v8, 1, v2
	s_delay_alu instid0(VALU_DEP_1)
	v_cndmask_b32_e32 v14, v2, v8, vcc_lo
.LBB0_6:                                ;   in Loop: Header=BB0_2 Depth=1
	s_or_b32 exec_lo, exec_lo, s2
	s_load_b64 s[2:3], s[12:13], 0x0
	v_mul_lo_u32 v2, v15, s18
	s_delay_alu instid0(VALU_DEP_2)
	v_mul_lo_u32 v9, v14, s19
	v_mad_u64_u32 v[7:8], null, v14, s18, 0
	s_add_u32 s16, s16, 1
	s_addc_u32 s17, s17, 0
	s_add_u32 s12, s12, 8
	s_addc_u32 s13, s13, 0
	;; [unrolled: 2-line block ×3, first 2 shown]
	s_delay_alu instid0(VALU_DEP_1) | instskip(SKIP_1) | instid1(VALU_DEP_2)
	v_add3_u32 v2, v8, v9, v2
	v_sub_co_u32 v7, vcc_lo, v5, v7
	v_sub_co_ci_u32_e32 v2, vcc_lo, v6, v2, vcc_lo
	s_waitcnt lgkmcnt(0)
	s_delay_alu instid0(VALU_DEP_2) | instskip(NEXT) | instid1(VALU_DEP_2)
	v_mul_lo_u32 v8, s3, v7
	v_mul_lo_u32 v2, s2, v2
	v_mad_u64_u32 v[5:6], null, s2, v7, v[3:4]
	v_cmp_ge_u64_e64 s2, s[16:17], s[6:7]
	s_delay_alu instid0(VALU_DEP_1) | instskip(NEXT) | instid1(VALU_DEP_2)
	s_and_b32 vcc_lo, exec_lo, s2
	v_add3_u32 v4, v8, v6, v2
	s_delay_alu instid0(VALU_DEP_3)
	v_mov_b32_e32 v3, v5
	s_cbranch_vccnz .LBB0_9
; %bb.7:                                ;   in Loop: Header=BB0_2 Depth=1
	v_dual_mov_b32 v5, v14 :: v_dual_mov_b32 v6, v15
	s_branch .LBB0_2
.LBB0_8:
	v_dual_mov_b32 v15, v6 :: v_dual_mov_b32 v14, v5
.LBB0_9:
	s_lshl_b64 s[2:3], s[6:7], 3
	v_mul_hi_u32 v1, 0x3291620, v0
	s_add_u32 s2, s10, s2
	s_addc_u32 s3, s11, s3
	s_load_b64 s[0:1], s[0:1], 0x20
	s_load_b64 s[2:3], s[2:3], 0x0
	s_delay_alu instid0(VALU_DEP_1) | instskip(NEXT) | instid1(VALU_DEP_1)
	v_mul_u32_u24_e32 v1, 0x51, v1
	v_sub_nc_u32_e32 v0, v0, v1
	s_delay_alu instid0(VALU_DEP_1)
	v_add_nc_u32_e32 v5, 0x51, v0
	v_add_nc_u32_e32 v13, 0xa2, v0
	;; [unrolled: 1-line block ×5, first 2 shown]
	s_waitcnt lgkmcnt(0)
	v_cmp_gt_u64_e32 vcc_lo, s[0:1], v[14:15]
	v_mul_lo_u32 v6, s2, v15
	v_mul_lo_u32 v16, s3, v14
	v_mad_u64_u32 v[1:2], null, s2, v14, v[3:4]
	v_cmp_le_u64_e64 s0, s[0:1], v[14:15]
	v_add_nc_u32_e32 v9, 0x1e6, v0
	v_add_nc_u32_e32 v8, 0x237, v0
	;; [unrolled: 1-line block ×4, first 2 shown]
	v_add3_u32 v2, v16, v2, v6
	s_and_saveexec_b32 s1, s0
	s_delay_alu instid0(SALU_CYCLE_1)
	s_xor_b32 s0, exec_lo, s1
; %bb.10:
	v_add_nc_u32_e32 v5, 0x51, v0
	v_add_nc_u32_e32 v13, 0xa2, v0
	;; [unrolled: 1-line block ×9, first 2 shown]
; %bb.11:
	s_or_saveexec_b32 s1, s0
	v_lshlrev_b64 v[2:3], 2, v[1:2]
	s_xor_b32 exec_lo, exec_lo, s1
	s_cbranch_execz .LBB0_13
; %bb.12:
	v_mov_b32_e32 v1, 0
	s_delay_alu instid0(VALU_DEP_1) | instskip(NEXT) | instid1(VALU_DEP_3)
	v_lshlrev_b64 v[14:15], 2, v[0:1]
	v_add_co_u32 v1, s0, s8, v2
	s_delay_alu instid0(VALU_DEP_1) | instskip(NEXT) | instid1(VALU_DEP_2)
	v_add_co_ci_u32_e64 v6, s0, s9, v3, s0
	v_add_co_u32 v14, s0, v1, v14
	s_delay_alu instid0(VALU_DEP_1)
	v_add_co_ci_u32_e64 v15, s0, v6, v15, s0
	s_clause 0x7
	global_load_b32 v1, v[14:15], off
	global_load_b32 v6, v[14:15], off offset:324
	global_load_b32 v18, v[14:15], off offset:648
	;; [unrolled: 1-line block ×7, first 2 shown]
	v_add_co_u32 v16, s0, 0x1000, v14
	s_delay_alu instid0(VALU_DEP_1)
	v_add_co_ci_u32_e64 v17, s0, 0, v15, s0
	s_clause 0x7
	global_load_b32 v24, v[14:15], off offset:2592
	global_load_b32 v25, v[14:15], off offset:2916
	;; [unrolled: 1-line block ×8, first 2 shown]
	v_add_co_u32 v14, s0, 0x2000, v14
	s_delay_alu instid0(VALU_DEP_1)
	v_add_co_ci_u32_e64 v15, s0, 0, v15, s0
	s_clause 0xd
	global_load_b32 v32, v[16:17], off offset:1088
	global_load_b32 v33, v[16:17], off offset:1412
	;; [unrolled: 1-line block ×14, first 2 shown]
	v_lshl_add_u32 v15, v0, 2, 0
	s_delay_alu instid0(VALU_DEP_1)
	v_add_nc_u32_e32 v44, 0x600, v15
	v_add_nc_u32_e32 v43, 0x400, v15
	;; [unrolled: 1-line block ×13, first 2 shown]
	s_waitcnt vmcnt(28)
	ds_store_2addr_b32 v15, v1, v6 offset1:81
	s_waitcnt vmcnt(26)
	ds_store_2addr_b32 v15, v18, v19 offset0:162 offset1:243
	s_waitcnt vmcnt(24)
	ds_store_2addr_b32 v43, v20, v21 offset0:68 offset1:149
	;; [unrolled: 2-line block ×14, first 2 shown]
.LBB0_13:
	s_or_b32 exec_lo, exec_lo, s1
	v_lshlrev_b32_e32 v1, 2, v0
	s_waitcnt lgkmcnt(0)
	s_barrier
	buffer_gl0_inv
	v_cmp_gt_u32_e64 s0, 9, v0
	v_add_nc_u32_e32 v44, 0, v1
	s_add_u32 s1, s4, 0x25d0
	s_addc_u32 s2, s5, 0
	s_mov_b32 s3, exec_lo
	s_delay_alu instid0(VALU_DEP_1)
	v_add_nc_u32_e32 v47, 0x1000, v44
	v_add_nc_u32_e32 v48, 0x1800, v44
	;; [unrolled: 1-line block ×4, first 2 shown]
	ds_load_2addr_b32 v[14:15], v44 offset0:162 offset1:243
	ds_load_2addr_b32 v[16:17], v47 offset0:110 offset1:191
	;; [unrolled: 1-line block ×5, first 2 shown]
	v_add_nc_u32_e32 v24, 0x400, v44
	v_add_nc_u32_e32 v49, 0xc00, v44
	;; [unrolled: 1-line block ×5, first 2 shown]
	ds_load_2addr_b32 v[38:39], v24 offset0:68 offset1:149
	ds_load_2addr_b32 v[36:37], v49 offset0:42 offset1:123
	;; [unrolled: 1-line block ×5, first 2 shown]
	s_waitcnt lgkmcnt(9)
	v_lshrrev_b32_e32 v68, 16, v14
	s_waitcnt lgkmcnt(8)
	v_lshrrev_b32_e32 v27, 16, v16
	s_waitcnt lgkmcnt(7)
	v_add_f16_e32 v24, v16, v18
	s_waitcnt lgkmcnt(6)
	v_lshrrev_b32_e32 v25, 16, v20
	s_waitcnt lgkmcnt(5)
	v_lshrrev_b32_e32 v26, 16, v22
	v_lshrrev_b32_e32 v30, 16, v18
	v_sub_f16_e32 v31, v22, v18
	v_fma_f16 v62, -0.5, v24, v14
	v_sub_f16_e32 v32, v20, v16
	v_sub_f16_e32 v24, v25, v26
	v_add_f16_e32 v33, v20, v22
	v_sub_f16_e32 v53, v27, v30
	v_add_f16_e32 v54, v25, v26
	v_add_f16_e32 v31, v32, v31
	v_fmamk_f16 v59, v24, 0xbb9c, v62
	v_fmac_f16_e32 v62, 0x3b9c, v24
	v_fma_f16 v60, -0.5, v33, v14
	v_add_f16_e32 v32, v27, v30
	v_sub_f16_e32 v51, v20, v22
	v_fmac_f16_e32 v59, 0xb8b4, v53
	v_fmac_f16_e32 v62, 0x38b4, v53
	v_sub_f16_e32 v52, v16, v18
	v_sub_f16_e32 v33, v25, v27
	v_fmamk_f16 v61, v53, 0x3b9c, v60
	v_fma_f16 v69, -0.5, v32, v68
	v_fmac_f16_e32 v60, 0xbb9c, v53
	v_fmac_f16_e32 v59, 0x34f2, v31
	;; [unrolled: 1-line block ×3, first 2 shown]
	v_sub_f16_e32 v31, v26, v30
	v_fmac_f16_e32 v68, -0.5, v54
	v_sub_f16_e32 v34, v18, v22
	v_sub_f16_e32 v35, v16, v20
	v_fmac_f16_e32 v61, 0xb8b4, v24
	v_fmamk_f16 v65, v51, 0x3b9c, v69
	v_fmac_f16_e32 v60, 0x38b4, v24
	v_add_f16_e32 v24, v33, v31
	v_fmac_f16_e32 v69, 0xbb9c, v51
	v_fmamk_f16 v67, v52, 0xbb9c, v68
	s_waitcnt lgkmcnt(1)
	v_add_f16_e32 v31, v41, v43
	v_sub_f16_e32 v25, v27, v25
	v_sub_f16_e32 v26, v30, v26
	v_fmac_f16_e32 v68, 0x3b9c, v52
	v_add_f16_e32 v32, v35, v34
	v_fmac_f16_e32 v65, 0x38b4, v52
	v_fmac_f16_e32 v69, 0xb8b4, v52
	v_fmac_f16_e32 v67, 0x38b4, v51
	v_fma_f16 v56, -0.5, v31, v39
	v_lshrrev_b32_e32 v30, 16, v41
	v_lshrrev_b32_e32 v31, 16, v43
	v_add_f16_e32 v25, v25, v26
	v_fmac_f16_e32 v68, 0xb8b4, v51
	s_waitcnt lgkmcnt(0)
	v_add_f16_e32 v34, v37, v29
	v_fmac_f16_e32 v61, 0x34f2, v32
	v_fmac_f16_e32 v60, 0x34f2, v32
	;; [unrolled: 1-line block ×3, first 2 shown]
	v_lshrrev_b32_e32 v32, 16, v37
	v_lshrrev_b32_e32 v33, 16, v29
	v_fmac_f16_e32 v69, 0x34f2, v24
	v_fmac_f16_e32 v67, 0x34f2, v25
	;; [unrolled: 1-line block ×3, first 2 shown]
	v_fma_f16 v57, -0.5, v34, v39
	v_sub_f16_e32 v24, v29, v43
	v_sub_f16_e32 v25, v37, v41
	v_add_f16_e32 v34, v30, v31
	v_lshrrev_b32_e32 v64, 16, v39
	v_sub_f16_e32 v27, v32, v33
	v_sub_f16_e32 v35, v30, v31
	v_add_f16_e32 v24, v25, v24
	v_add_f16_e32 v25, v32, v33
	v_fma_f16 v66, -0.5, v34, v64
	v_sub_f16_e32 v34, v37, v29
	v_sub_f16_e32 v52, v41, v43
	;; [unrolled: 1-line block ×3, first 2 shown]
	v_fmac_f16_e32 v64, -0.5, v25
	v_sub_f16_e32 v54, v33, v31
	v_fmamk_f16 v70, v34, 0x3b9c, v66
	v_fmamk_f16 v26, v27, 0xbb9c, v56
	v_fmac_f16_e32 v56, 0x3b9c, v27
	v_fmamk_f16 v63, v35, 0x3b9c, v57
	v_sub_f16_e32 v51, v43, v29
	v_sub_f16_e32 v25, v41, v37
	v_fmamk_f16 v71, v52, 0xbb9c, v64
	v_sub_f16_e32 v30, v30, v32
	v_sub_f16_e32 v31, v31, v33
	v_fmac_f16_e32 v70, 0x38b4, v52
	v_add_f16_e32 v32, v53, v54
	v_fmac_f16_e32 v64, 0x3b9c, v52
	v_fmac_f16_e32 v57, 0xbb9c, v35
	;; [unrolled: 1-line block ×6, first 2 shown]
	v_add_f16_e32 v25, v25, v51
	v_fmac_f16_e32 v71, 0x38b4, v34
	v_add_f16_e32 v30, v30, v31
	v_fmac_f16_e32 v70, 0x34f2, v32
	v_fmac_f16_e32 v64, 0xb8b4, v34
	v_fmac_f16_e32 v57, 0x38b4, v27
	v_fmac_f16_e32 v66, 0xb8b4, v52
	v_add_nc_u32_e32 v53, 0xe00, v44
	v_add_nc_u32_e32 v51, 0x1600, v44
	v_fmac_f16_e32 v26, 0x34f2, v24
	v_fmac_f16_e32 v56, 0x34f2, v24
	v_add_nc_u32_e32 v24, 0x600, v44
	v_add_nc_u32_e32 v52, 0x1c00, v44
	v_fmac_f16_e32 v63, 0x34f2, v25
	v_fmac_f16_e32 v71, 0x34f2, v30
	v_mul_f16_e32 v72, 0xb8b4, v70
	v_fmac_f16_e32 v64, 0x34f2, v30
	v_fmac_f16_e32 v57, 0x34f2, v25
	;; [unrolled: 1-line block ×3, first 2 shown]
	ds_load_2addr_b32 v[32:33], v53 offset0:76 offset1:157
	ds_load_2addr_b32 v[34:35], v51 offset0:50 offset1:131
	;; [unrolled: 1-line block ×4, first 2 shown]
	v_fmac_f16_e32 v72, 0x3a79, v26
	v_mul_f16_e32 v76, 0x38b4, v26
	ds_load_2addr_b32 v[26:27], v44 offset1:81
	v_mul_f16_e32 v73, 0xbb9c, v71
	v_mul_f16_e32 v74, 0xbb9c, v64
	;; [unrolled: 1-line block ×4, first 2 shown]
	v_fmac_f16_e32 v76, 0x3a79, v70
	v_fmac_f16_e32 v73, 0x34f2, v63
	;; [unrolled: 1-line block ×3, first 2 shown]
	v_add_f16_e32 v55, v59, v72
	v_mul_f16_e32 v77, 0xb4f2, v64
	v_mul_f16_e32 v78, 0xba79, v66
	v_add_f16_e32 v54, v61, v73
	v_add_f16_e32 v58, v60, v74
	v_fmac_f16_e32 v75, 0xba79, v56
	v_fmac_f16_e32 v71, 0x3b9c, v63
	s_waitcnt lgkmcnt(3)
	v_add_f16_e32 v70, v33, v35
	s_waitcnt lgkmcnt(2)
	v_lshrrev_b32_e32 v79, 16, v31
	s_waitcnt lgkmcnt(1)
	v_lshrrev_b32_e32 v80, 16, v25
	v_sub_f16_e32 v59, v59, v72
	v_sub_f16_e32 v61, v61, v73
	;; [unrolled: 1-line block ×3, first 2 shown]
	s_waitcnt lgkmcnt(0)
	v_fma_f16 v70, -0.5, v70, v27
	v_sub_f16_e32 v72, v79, v80
	v_lshrrev_b32_e32 v73, 16, v33
	v_lshrrev_b32_e32 v74, 16, v35
	v_fmac_f16_e32 v77, 0x3b9c, v57
	v_fmac_f16_e32 v78, 0x38b4, v56
	v_add_f16_e32 v56, v62, v75
	v_add_f16_e32 v64, v65, v76
	;; [unrolled: 1-line block ×3, first 2 shown]
	v_sub_f16_e32 v62, v62, v75
	v_sub_f16_e32 v65, v65, v76
	;; [unrolled: 1-line block ×3, first 2 shown]
	v_fmamk_f16 v75, v72, 0xbb9c, v70
	v_sub_f16_e32 v71, v73, v74
	v_sub_f16_e32 v76, v25, v35
	v_sub_f16_e32 v81, v31, v33
	v_fmac_f16_e32 v70, 0x3b9c, v72
	v_add_f16_e32 v82, v31, v25
	v_add_f16_e32 v66, v68, v77
	v_sub_f16_e32 v68, v68, v77
	v_fmac_f16_e32 v75, 0xb8b4, v71
	v_add_f16_e32 v76, v81, v76
	v_fmac_f16_e32 v70, 0x38b4, v71
	v_fma_f16 v77, -0.5, v82, v27
	v_sub_f16_e32 v81, v35, v25
	v_sub_f16_e32 v82, v33, v31
	v_add_f16_e32 v57, v69, v78
	v_sub_f16_e32 v69, v69, v78
	v_fmac_f16_e32 v75, 0x34f2, v76
	v_fmac_f16_e32 v70, 0x34f2, v76
	v_fmamk_f16 v76, v71, 0x3b9c, v77
	v_add_f16_e32 v78, v82, v81
	v_fmac_f16_e32 v77, 0xbb9c, v71
	v_add_f16_e32 v71, v73, v74
	v_lshrrev_b32_e32 v81, 16, v27
	v_sub_f16_e32 v82, v79, v73
	v_sub_f16_e32 v83, v80, v74
	;; [unrolled: 1-line block ×3, first 2 shown]
	v_fmac_f16_e32 v76, 0xb8b4, v72
	v_fma_f16 v71, -0.5, v71, v81
	v_add_f16_e32 v84, v79, v80
	v_fmac_f16_e32 v77, 0x38b4, v72
	v_add_f16_e32 v72, v82, v83
	v_pk_add_f16 v37, v39, v37
	v_fmamk_f16 v82, v85, 0x3b9c, v71
	v_sub_f16_e32 v39, v33, v35
	v_fmac_f16_e32 v71, 0xbb9c, v85
	v_fmac_f16_e32 v81, -0.5, v84
	v_pk_add_f16 v37, v37, v41
	v_sub_f16_e32 v41, v73, v79
	v_sub_f16_e32 v73, v74, v80
	v_fmac_f16_e32 v82, 0x38b4, v39
	v_fmac_f16_e32 v71, 0xb8b4, v39
	v_pk_add_f16 v37, v37, v43
	v_fmac_f16_e32 v76, 0x34f2, v78
	v_add_f16_e32 v41, v41, v73
	v_fmac_f16_e32 v82, 0x34f2, v72
	v_fmac_f16_e32 v71, 0x34f2, v72
	v_fmamk_f16 v72, v39, 0xbb9c, v81
	v_fmac_f16_e32 v81, 0x3b9c, v39
	v_sub_f16_e32 v39, v28, v42
	v_sub_f16_e32 v73, v36, v40
	v_fmac_f16_e32 v77, 0x34f2, v78
	v_pk_add_f16 v43, v38, v36
	v_add_f16_e32 v74, v40, v42
	v_lshrrev_b32_e32 v78, 16, v36
	v_add_f16_e32 v39, v73, v39
	v_lshrrev_b32_e32 v73, 16, v42
	v_lshrrev_b32_e32 v79, 16, v28
	v_add_f16_e32 v80, v36, v28
	v_lshrrev_b32_e32 v83, 16, v40
	v_pk_add_f16 v43, v43, v40
	v_fma_f16 v74, -0.5, v74, v38
	v_sub_f16_e32 v84, v78, v79
	v_fma_f16 v80, -0.5, v80, v38
	v_sub_f16_e32 v86, v83, v73
	v_fmac_f16_e32 v72, 0x38b4, v85
	v_fmac_f16_e32 v81, 0xb8b4, v85
	v_pk_add_f16 v43, v43, v42
	v_sub_f16_e32 v85, v42, v28
	v_sub_f16_e32 v42, v40, v42
	v_fmamk_f16 v87, v84, 0xbb9c, v74
	v_fmac_f16_e32 v74, 0x3b9c, v84
	v_sub_f16_e32 v40, v40, v36
	v_fmamk_f16 v88, v86, 0x3b9c, v80
	v_fmac_f16_e32 v80, 0xbb9c, v86
	v_fmac_f16_e32 v87, 0xb8b4, v86
	;; [unrolled: 1-line block ×3, first 2 shown]
	v_add_f16_e32 v40, v40, v85
	v_fmac_f16_e32 v88, 0xb8b4, v84
	v_fmac_f16_e32 v80, 0x38b4, v84
	;; [unrolled: 1-line block ×4, first 2 shown]
	v_lshrrev_b32_e32 v38, 16, v38
	v_add_f16_e32 v39, v83, v73
	v_fmac_f16_e32 v88, 0x34f2, v40
	v_fmac_f16_e32 v80, 0x34f2, v40
	v_add_f16_e32 v40, v78, v79
	v_sub_f16_e32 v36, v36, v28
	v_fma_f16 v39, -0.5, v39, v38
	v_fmac_f16_e32 v72, 0x34f2, v41
	v_fmac_f16_e32 v81, 0x34f2, v41
	v_fmac_f16_e32 v38, -0.5, v40
	v_sub_f16_e32 v41, v78, v83
	v_sub_f16_e32 v84, v79, v73
	;; [unrolled: 1-line block ×3, first 2 shown]
	v_fmamk_f16 v78, v36, 0x3b9c, v39
	v_sub_f16_e32 v73, v73, v79
	v_fmamk_f16 v79, v42, 0xbb9c, v38
	v_add_f16_e32 v41, v41, v84
	v_fmac_f16_e32 v39, 0xbb9c, v36
	v_fmac_f16_e32 v78, 0x38b4, v42
	v_add_f16_e32 v40, v40, v73
	v_fmac_f16_e32 v79, 0x38b4, v36
	v_fmac_f16_e32 v38, 0x3b9c, v42
	;; [unrolled: 1-line block ×4, first 2 shown]
	v_pk_add_f16 v27, v27, v31
	v_fmac_f16_e32 v79, 0x34f2, v40
	v_fmac_f16_e32 v38, 0xb8b4, v36
	v_pk_add_f16 v28, v43, v28
	v_mul_f16_e32 v36, 0xb8b4, v78
	v_fmac_f16_e32 v39, 0x34f2, v41
	v_mul_f16_e32 v42, 0xbb9c, v79
	v_fmac_f16_e32 v38, 0x34f2, v40
	v_mul_f16_e32 v43, 0x38b4, v87
	v_pk_add_f16 v31, v27, v33
	v_fmac_f16_e32 v36, 0x3a79, v87
	v_fmac_f16_e32 v42, 0x34f2, v88
	v_mul_f16_e32 v41, 0xbb9c, v38
	v_mul_f16_e32 v83, 0xb8b4, v39
	v_fmac_f16_e32 v43, 0x3a79, v78
	v_mul_f16_e32 v78, 0x34f2, v79
	v_mul_f16_e32 v79, 0xb4f2, v38
	v_pk_add_f16 v27, v37, v29
	v_pk_add_f16 v73, v31, v35
	v_add_f16_e32 v29, v75, v36
	v_add_f16_e32 v31, v76, v42
	v_fmac_f16_e32 v41, 0xb4f2, v80
	v_fmac_f16_e32 v83, 0xba79, v74
	;; [unrolled: 1-line block ×4, first 2 shown]
	v_sub_f16_e32 v36, v75, v36
	v_sub_f16_e32 v38, v76, v42
	;; [unrolled: 1-line block ×4, first 2 shown]
	v_mul_f16_e32 v84, 0xba79, v39
	v_add_f16_e32 v33, v77, v41
	v_add_f16_e32 v35, v70, v83
	;; [unrolled: 1-line block ×4, first 2 shown]
	v_sub_f16_e32 v39, v77, v41
	v_sub_f16_e32 v41, v70, v83
	;; [unrolled: 1-line block ×3, first 2 shown]
	v_pk_add_f16 v72, v26, v30
	v_sub_f16_e32 v77, v81, v79
	v_lshrrev_b32_e32 v78, 16, v34
	v_add_f16_e32 v75, v76, v75
	v_add_f16_e32 v76, v30, v24
	v_lshrrev_b32_e32 v81, 16, v32
	v_pk_add_f16 v72, v72, v32
	v_lshrrev_b32_e32 v79, 16, v30
	v_lshrrev_b32_e32 v80, 16, v24
	v_fma_f16 v76, -0.5, v76, v26
	v_sub_f16_e32 v85, v81, v78
	v_fmac_f16_e32 v84, 0x38b4, v74
	v_add_f16_e32 v37, v82, v43
	v_sub_f16_e32 v43, v82, v43
	v_add_f16_e32 v74, v32, v34
	v_sub_f16_e32 v82, v34, v24
	v_sub_f16_e32 v83, v79, v80
	v_pk_add_f16 v72, v72, v34
	v_sub_f16_e32 v34, v32, v34
	v_sub_f16_e32 v32, v32, v30
	v_fmamk_f16 v87, v85, 0x3b9c, v76
	v_fmac_f16_e32 v76, 0xbb9c, v85
	v_fma_f16 v74, -0.5, v74, v26
	v_lshrrev_b32_e32 v26, 16, v26
	v_add_f16_e32 v32, v32, v82
	v_fmac_f16_e32 v87, 0xb8b4, v83
	v_fmac_f16_e32 v76, 0x38b4, v83
	v_fmamk_f16 v86, v83, 0xbb9c, v74
	v_fmac_f16_e32 v74, 0x3b9c, v83
	v_sub_f16_e32 v30, v30, v24
	v_fmac_f16_e32 v87, 0x34f2, v32
	v_fmac_f16_e32 v76, 0x34f2, v32
	v_add_f16_e32 v32, v81, v78
	v_fmac_f16_e32 v86, 0xb8b4, v85
	v_fmac_f16_e32 v74, 0x38b4, v85
	v_pk_add_f16 v14, v14, v20
	v_pk_add_f16 v25, v73, v25
	v_fma_f16 v20, -0.5, v32, v26
	v_add_f16_e32 v32, v79, v80
	v_fmac_f16_e32 v86, 0x34f2, v75
	v_fmac_f16_e32 v74, 0x34f2, v75
	v_sub_f16_e32 v73, v79, v81
	v_sub_f16_e32 v75, v80, v78
	v_pk_add_f16 v14, v14, v16
	v_fmamk_f16 v16, v30, 0x3b9c, v20
	v_fmac_f16_e32 v26, -0.5, v32
	v_fmac_f16_e32 v20, 0xbb9c, v30
	v_pk_add_f16 v24, v72, v24
	v_add_f16_e32 v72, v73, v75
	v_sub_f16_e32 v32, v81, v79
	v_pk_add_f16 v14, v14, v18
	v_fmac_f16_e32 v16, 0x38b4, v34
	v_sub_f16_e32 v18, v78, v80
	v_fmamk_f16 v73, v34, 0xbb9c, v26
	v_fmac_f16_e32 v20, 0xb8b4, v34
	v_fmac_f16_e32 v26, 0x3b9c, v34
	v_pk_add_f16 v34, v15, v21
	v_pk_add_f16 v14, v14, v22
	v_fmac_f16_e32 v73, 0x38b4, v30
	v_add_f16_e32 v18, v32, v18
	v_fmac_f16_e32 v26, 0xb8b4, v30
	v_pk_add_f16 v22, v34, v17
	v_fmac_f16_e32 v16, 0x34f2, v72
	v_fmac_f16_e32 v20, 0x34f2, v72
	;; [unrolled: 1-line block ×4, first 2 shown]
	v_pk_add_f16 v18, v22, v19
	v_lshrrev_b32_e32 v22, 16, v23
	v_add_f16_e32 v34, v17, v19
	v_lshrrev_b32_e32 v72, 16, v21
	v_add_f16_e32 v32, v21, v23
	v_lshrrev_b32_e32 v78, 16, v17
	v_lshrrev_b32_e32 v80, 16, v19
	v_fma_f16 v34, -0.5, v34, v15
	v_sub_f16_e32 v79, v72, v22
	v_add_f16_e32 v82, v71, v84
	v_sub_f16_e32 v71, v71, v84
	v_sub_f16_e32 v30, v23, v19
	;; [unrolled: 1-line block ×3, first 2 shown]
	v_fmamk_f16 v83, v79, 0xbb9c, v34
	v_sub_f16_e32 v84, v78, v80
	v_fmac_f16_e32 v34, 0x3b9c, v79
	v_fma_f16 v32, -0.5, v32, v15
	v_sub_f16_e32 v75, v19, v23
	v_pk_add_f16 v18, v18, v23
	v_sub_f16_e32 v23, v21, v23
	v_sub_f16_e32 v21, v17, v21
	;; [unrolled: 1-line block ×3, first 2 shown]
	v_add_f16_e32 v19, v81, v30
	v_fmac_f16_e32 v83, 0xb8b4, v84
	v_fmac_f16_e32 v34, 0x38b4, v84
	v_fmamk_f16 v30, v84, 0x3b9c, v32
	v_fmac_f16_e32 v32, 0xbb9c, v84
	v_lshrrev_b32_e32 v15, 16, v15
	v_add_f16_e32 v81, v78, v80
	v_add_f16_e32 v84, v72, v22
	v_fmac_f16_e32 v83, 0x34f2, v19
	v_fmac_f16_e32 v34, 0x34f2, v19
	v_add_f16_e32 v19, v21, v75
	v_fma_f16 v75, -0.5, v81, v15
	v_fmac_f16_e32 v15, -0.5, v84
	v_sub_f16_e32 v21, v72, v78
	v_sub_f16_e32 v81, v22, v80
	;; [unrolled: 1-line block ×4, first 2 shown]
	v_fmamk_f16 v78, v17, 0xbb9c, v15
	v_fmac_f16_e32 v30, 0xb8b4, v79
	v_fmac_f16_e32 v32, 0x38b4, v79
	v_fmamk_f16 v79, v23, 0x3b9c, v75
	v_fmac_f16_e32 v75, 0xbb9c, v23
	v_fmac_f16_e32 v15, 0x3b9c, v17
	v_add_f16_e32 v72, v72, v22
	v_fmac_f16_e32 v78, 0x38b4, v23
	v_add_f16_e32 v21, v21, v81
	v_fmac_f16_e32 v79, 0x38b4, v17
	v_fmac_f16_e32 v75, 0xb8b4, v17
	;; [unrolled: 1-line block ×8, first 2 shown]
	v_mul_f16_e32 v21, 0xbb9c, v78
	v_mul_f16_e32 v72, 0x38b4, v83
	;; [unrolled: 1-line block ×3, first 2 shown]
	v_fmac_f16_e32 v32, 0x34f2, v19
	v_mul_f16_e32 v19, 0xb8b4, v79
	v_fmac_f16_e32 v21, 0x34f2, v30
	v_fmac_f16_e32 v72, 0x3a79, v79
	v_mul_f16_e32 v79, 0xbb9c, v15
	v_fmac_f16_e32 v78, 0x3b9c, v30
	v_mul_f16_e32 v30, 0xb8b4, v75
	v_mul_f16_e32 v15, 0xb4f2, v15
	;; [unrolled: 1-line block ×3, first 2 shown]
	v_fmac_f16_e32 v19, 0x3a79, v83
	v_fmac_f16_e32 v79, 0xb4f2, v32
	;; [unrolled: 1-line block ×5, first 2 shown]
	v_mul_u32_u24_e32 v17, 10, v0
	v_add_f16_e32 v34, v86, v19
	v_add_f16_e32 v83, v76, v79
	v_sub_f16_e32 v76, v76, v79
	v_add_f16_e32 v79, v74, v30
	v_sub_f16_e32 v30, v74, v30
	v_add_f16_e32 v74, v16, v72
	v_add_f16_e32 v81, v87, v21
	v_sub_f16_e32 v16, v16, v72
	v_add_f16_e32 v72, v73, v78
	v_sub_f16_e32 v73, v73, v78
	;; [unrolled: 2-line block ×4, first 2 shown]
	v_sub_f16_e32 v21, v87, v21
	v_sub_f16_e32 v20, v20, v75
	v_mul_i32_i24_e32 v22, 10, v5
	v_lshl_add_u32 v17, v17, 2, 0
	v_pk_add_f16 v75, v24, v18
	v_pack_b32_f16 v34, v34, v74
	v_pack_b32_f16 v74, v83, v78
	;; [unrolled: 1-line block ×3, first 2 shown]
	v_pk_add_f16 v18, v24, v18 neg_lo:[0,1] neg_hi:[0,1]
	v_pack_b32_f16 v24, v79, v26
	v_pack_b32_f16 v21, v21, v73
	v_pack_b32_f16 v16, v19, v16
	v_pack_b32_f16 v19, v30, v20
	v_pack_b32_f16 v15, v76, v15
	v_lshl_add_u32 v23, v22, 2, 0
	v_pk_add_f16 v32, v25, v28
	s_barrier
	buffer_gl0_inv
	ds_store_2addr_b32 v17, v75, v34 offset1:1
	ds_store_2addr_b32 v17, v72, v74 offset0:2 offset1:3
	ds_store_2addr_b32 v17, v24, v18 offset0:4 offset1:5
	;; [unrolled: 1-line block ×4, first 2 shown]
	v_pack_b32_f16 v15, v29, v37
	v_pack_b32_f16 v17, v31, v40
	v_and_b32_e32 v40, 0xff, v0
	v_pack_b32_f16 v16, v33, v42
	v_pk_add_f16 v18, v25, v28 neg_lo:[0,1] neg_hi:[0,1]
	v_pack_b32_f16 v19, v35, v82
	v_pack_b32_f16 v20, v38, v70
	;; [unrolled: 1-line block ×4, first 2 shown]
	ds_store_2addr_b32 v23, v32, v15 offset1:1
	ds_store_2addr_b32 v23, v17, v16 offset0:2 offset1:3
	ds_store_2addr_b32 v23, v19, v18 offset0:4 offset1:5
	;; [unrolled: 1-line block ×3, first 2 shown]
	v_mul_lo_u16 v15, 0xcd, v40
	v_and_b32_e32 v39, 0xff, v5
	v_mul_i32_i24_e32 v80, 10, v13
	v_pack_b32_f16 v24, v41, v71
	v_pack_b32_f16 v16, v55, v64
	v_lshrrev_b16 v30, 11, v15
	v_mul_lo_u16 v21, 0xcd, v39
	v_lshl_add_u32 v22, v80, 2, 0
	v_pk_add_f16 v80, v14, v27
	v_pack_b32_f16 v17, v58, v66
	v_mul_lo_u16 v20, v30, 10
	v_lshrrev_b16 v58, 11, v21
	v_pack_b32_f16 v18, v54, v63
	v_pk_add_f16 v14, v14, v27 neg_lo:[0,1] neg_hi:[0,1]
	v_pack_b32_f16 v15, v56, v57
	ds_store_2addr_b32 v23, v25, v24 offset0:8 offset1:9
	v_pack_b32_f16 v19, v61, v67
	v_pack_b32_f16 v24, v59, v65
	v_sub_nc_u16 v27, v0, v20
	ds_store_2addr_b32 v22, v80, v16 offset1:1
	ds_store_2addr_b32 v22, v18, v17 offset0:2 offset1:3
	ds_store_2addr_b32 v22, v15, v14 offset0:4 offset1:5
	;; [unrolled: 1-line block ×3, first 2 shown]
	v_and_b32_e32 v20, 0xff, v13
	v_mul_lo_u16 v14, v58, 10
	v_and_b32_e32 v21, 0xffff, v12
	v_and_b32_e32 v31, 0xff, v27
	v_pack_b32_f16 v25, v62, v69
	v_mul_lo_u16 v15, 0xcd, v20
	v_sub_nc_u16 v17, v5, v14
	v_pack_b32_f16 v26, v60, v68
	v_lshlrev_b32_e32 v16, 3, v31
	v_and_b32_e32 v37, 0xffff, v11
	v_lshrrev_b16 v61, 11, v15
	v_and_b32_e32 v65, 0xff, v17
	v_mul_u32_u24_e32 v17, 0xcccd, v21
	ds_store_2addr_b32 v22, v26, v25 offset0:8 offset1:9
	s_waitcnt lgkmcnt(0)
	s_barrier
	buffer_gl0_inv
	global_load_b64 v[14:15], v16, s[4:5]
	v_mul_lo_u16 v16, v61, 10
	v_lshlrev_b32_e32 v18, 3, v65
	v_lshrrev_b32_e32 v62, 19, v17
	v_and_b32_e32 v38, 0xffff, v10
	v_and_b32_e32 v33, 0xffff, v9
	v_sub_nc_u16 v19, v13, v16
	global_load_b64 v[16:17], v18, s[4:5]
	v_mul_lo_u16 v18, v62, 10
	v_mul_u32_u24_e32 v26, 0xcccd, v38
	v_and_b32_e32 v34, 0xffff, v8
	v_and_b32_e32 v67, 0xff, v19
	v_mul_u32_u24_e32 v19, 0xcccd, v37
	v_sub_nc_u16 v25, v12, v18
	v_lshrrev_b32_e32 v43, 19, v26
	v_mul_u32_u24_e32 v26, 0xcccd, v33
	v_lshlrev_b32_e32 v24, 3, v67
	v_lshrrev_b32_e32 v64, 19, v19
	v_and_b32_e32 v66, 0xffff, v25
	v_lshl_add_u32 v29, v12, 2, 0
	v_lshrrev_b32_e32 v56, 19, v26
	global_load_b64 v[18:19], v24, s[4:5]
	v_lshl_add_u32 v28, v11, 2, 0
	v_lshlrev_b32_e32 v25, 3, v66
	v_lshl_add_u32 v27, v10, 2, 0
	v_and_b32_e32 v30, 0xffff, v30
	v_lshlrev_b32_e32 v31, 2, v31
	v_and_b32_e32 v58, 0xffff, v58
	global_load_b64 v[35:36], v25, s[4:5]
	v_mul_lo_u16 v24, v64, 10
	v_mul_lo_u16 v25, v43, 10
	v_mul_u32_u24_e32 v30, 0x78, v30
	v_mul_u32_u24_e32 v58, 0x78, v58
	v_lshlrev_b32_e32 v65, 2, v65
	v_sub_nc_u16 v24, v11, v24
	v_and_b32_e32 v61, 0xffff, v61
	v_lshlrev_b32_e32 v67, 2, v67
	v_mul_u32_u24_e32 v62, 0x78, v62
	v_add3_u32 v58, 0, v58, v65
	v_and_b32_e32 v68, 0xffff, v24
	v_mul_u32_u24_e32 v61, 0x78, v61
	v_lshlrev_b32_e32 v66, 2, v66
	v_mul_u32_u24_e32 v64, 0x78, v64
	v_mul_u32_u24_e32 v43, 0x78, v43
	v_lshlrev_b32_e32 v24, 3, v68
	v_add3_u32 v61, 0, v61, v67
	v_add3_u32 v62, 0, v62, v66
	v_lshlrev_b32_e32 v68, 2, v68
	v_mul_lo_u16 v40, 0x89, v40
	global_load_b64 v[71:72], v24, s[4:5]
	v_sub_nc_u16 v24, v10, v25
	v_mul_u32_u24_e32 v25, 0xcccd, v34
	v_add3_u32 v64, 0, v64, v68
	v_mul_lo_u16 v39, 0x89, v39
	s_delay_alu instid0(VALU_DEP_4) | instskip(SKIP_3) | instid1(VALU_DEP_4)
	v_and_b32_e32 v59, 0xffff, v24
	v_mul_lo_u16 v24, v56, 10
	v_lshrrev_b32_e32 v55, 19, v25
	v_mul_u32_u24_e32 v56, 0x78, v56
	v_lshlrev_b32_e32 v26, 3, v59
	s_delay_alu instid0(VALU_DEP_4) | instskip(NEXT) | instid1(VALU_DEP_4)
	v_sub_nc_u16 v24, v9, v24
	v_mul_lo_u16 v25, v55, 10
	v_lshlrev_b32_e32 v59, 2, v59
	v_mul_u32_u24_e32 v55, 0x78, v55
	global_load_b64 v[73:74], v26, s[4:5]
	v_and_b32_e32 v60, 0xffff, v24
	v_sub_nc_u16 v24, v8, v25
	v_add3_u32 v43, 0, v43, v59
	s_delay_alu instid0(VALU_DEP_3) | instskip(NEXT) | instid1(VALU_DEP_3)
	v_lshlrev_b32_e32 v25, 3, v60
	v_and_b32_e32 v57, 0xffff, v24
	v_lshlrev_b32_e32 v60, 2, v60
	global_load_b64 v[75:76], v25, s[4:5]
	v_lshlrev_b32_e32 v24, 3, v57
	v_lshl_add_u32 v26, v9, 2, 0
	v_lshlrev_b32_e32 v57, 2, v57
	v_add3_u32 v56, 0, v56, v60
	global_load_b64 v[77:78], v24, s[4:5]
	ds_load_2addr_b32 v[79:80], v48 offset0:84 offset1:165
	ds_load_2addr_b32 v[81:82], v49 offset0:42 offset1:123
	ds_load_2addr_b32 v[83:84], v53 offset0:76 offset1:157
	ds_load_2addr_b32 v[85:86], v50 offset0:118 offset1:199
	ds_load_u16 v87, v44 offset:3242
	v_lshl_add_u32 v25, v8, 2, 0
	v_lshl_add_u32 v24, v7, 2, 0
	ds_load_b32 v70, v29
	ds_load_b32 v69, v28
	;; [unrolled: 1-line block ×7, first 2 shown]
	s_waitcnt lgkmcnt(11)
	v_lshrrev_b32_e32 v32, 16, v79
	s_waitcnt lgkmcnt(10)
	v_lshrrev_b32_e32 v88, 16, v82
	v_lshrrev_b32_e32 v89, 16, v80
	s_waitcnt lgkmcnt(9)
	v_lshrrev_b32_e32 v90, 16, v83
	s_waitcnt lgkmcnt(8)
	v_lshrrev_b32_e32 v91, 16, v85
	v_lshrrev_b32_e32 v96, 16, v84
	s_waitcnt vmcnt(7)
	v_lshrrev_b32_e32 v92, 16, v14
	v_lshrrev_b32_e32 v93, 16, v15
	s_waitcnt lgkmcnt(7)
	s_delay_alu instid0(VALU_DEP_2)
	v_mul_f16_e32 v95, v87, v92
	v_mul_f16_e32 v92, v92, v81
	s_waitcnt vmcnt(6)
	v_lshrrev_b32_e32 v97, 16, v16
	v_mul_f16_e32 v98, v79, v93
	v_mul_f16_e32 v93, v32, v93
	v_fmac_f16_e32 v95, v14, v81
	v_fma_f16 v87, v87, v14, -v92
	v_lshrrev_b32_e32 v14, 16, v17
	v_mul_f16_e32 v92, v88, v97
	v_fma_f16 v32, v32, v15, -v98
	v_fmac_f16_e32 v93, v79, v15
	v_mul_f16_e32 v15, v82, v97
	v_mul_f16_e32 v97, v89, v14
	v_fmac_f16_e32 v92, v82, v16
	v_mul_f16_e32 v14, v80, v14
	v_lshrrev_b32_e32 v81, 16, v86
	s_waitcnt vmcnt(5)
	v_lshrrev_b32_e32 v79, 16, v18
	v_fmac_f16_e32 v97, v80, v17
	v_fma_f16 v88, v88, v16, -v15
	v_lshrrev_b32_e32 v16, 16, v19
	v_fma_f16 v89, v89, v17, -v14
	v_mul_f16_e32 v98, v90, v79
	v_mul_f16_e32 v82, v83, v79
	ds_load_2addr_b32 v[79:80], v52 offset0:152 offset1:233
	ds_load_2addr_b32 v[14:15], v47 offset0:110 offset1:191
	s_waitcnt vmcnt(4)
	v_lshrrev_b32_e32 v17, 16, v35
	v_fmac_f16_e32 v98, v83, v18
	v_mul_f16_e32 v83, v91, v16
	v_lshrrev_b32_e32 v99, 16, v36
	v_mul_f16_e32 v16, v85, v16
	v_fma_f16 v90, v90, v18, -v82
	s_delay_alu instid0(VALU_DEP_4)
	v_fmac_f16_e32 v83, v85, v19
	v_mul_f16_e32 v85, v96, v17
	v_mul_f16_e32 v100, v81, v99
	v_fma_f16 v91, v91, v19, -v16
	v_mul_f16_e32 v16, v84, v17
	v_mul_f16_e32 v17, v86, v99
	v_fmac_f16_e32 v85, v84, v35
	v_fmac_f16_e32 v100, v86, v36
	s_delay_alu instid0(VALU_DEP_4) | instskip(NEXT) | instid1(VALU_DEP_4)
	v_fma_f16 v84, v96, v35, -v16
	v_fma_f16 v86, v81, v36, -v17
	s_waitcnt lgkmcnt(1)
	v_lshrrev_b32_e32 v36, 16, v79
	s_waitcnt vmcnt(3)
	v_lshrrev_b32_e32 v18, 16, v71
	v_lshrrev_b32_e32 v16, 16, v72
	v_and_b32_e32 v35, 0xffff, v7
	s_waitcnt lgkmcnt(0)
	v_lshrrev_b32_e32 v17, 16, v14
	v_mul_f16_e32 v19, v14, v18
	v_mul_f16_e32 v81, v79, v16
	;; [unrolled: 1-line block ×3, first 2 shown]
	v_mul_u32_u24_e32 v16, 0xcccd, v35
	v_mul_f16_e32 v96, v17, v18
	v_fma_f16 v99, v17, v71, -v19
	v_fma_f16 v102, v36, v72, -v81
	v_lshrrev_b32_e32 v36, 16, v15
	v_lshrrev_b32_e32 v17, 19, v16
	ds_load_2addr_b32 v[81:82], v45 offset0:58 offset1:139
	ds_load_2addr_b32 v[18:19], v46 offset0:16 offset1:97
	s_waitcnt vmcnt(2)
	v_lshrrev_b32_e32 v103, 16, v73
	v_fmac_f16_e32 v96, v14, v71
	v_mul_lo_u16 v106, v17, 10
	v_lshrrev_b32_e32 v16, 16, v80
	v_lshrrev_b32_e32 v104, 16, v74
	v_mul_f16_e32 v105, v36, v103
	v_fmac_f16_e32 v101, v79, v72
	v_sub_nc_u16 v14, v7, v106
	v_mul_u32_u24_e32 v17, 0x78, v17
	v_mul_f16_e32 v79, v16, v104
	v_fmac_f16_e32 v105, v15, v73
	v_mul_f16_e32 v15, v15, v103
	v_and_b32_e32 v14, 0xffff, v14
	v_mul_f16_e32 v71, v80, v104
	v_fmac_f16_e32 v79, v80, v74
	s_waitcnt vmcnt(1)
	v_lshrrev_b32_e32 v80, 16, v75
	v_fma_f16 v103, v36, v73, -v15
	v_lshlrev_b32_e32 v36, 3, v14
	v_lshrrev_b32_e32 v73, 16, v76
	v_fma_f16 v104, v16, v74, -v71
	s_waitcnt lgkmcnt(1)
	v_lshrrev_b32_e32 v74, 16, v81
	s_waitcnt lgkmcnt(0)
	v_lshrrev_b32_e32 v15, 16, v18
	global_load_b64 v[71:72], v36, s[4:5]
	v_mul_f16_e32 v36, v81, v73
	v_mul_f16_e32 v16, v18, v80
	;; [unrolled: 1-line block ×4, first 2 shown]
	v_lshrrev_b32_e32 v73, 16, v82
	v_fma_f16 v111, v74, v76, -v36
	v_and_b32_e32 v36, 0xffff, v4
	v_fma_f16 v109, v15, v75, -v16
	s_waitcnt vmcnt(1)
	v_lshrrev_b32_e32 v16, 16, v78
	v_fmac_f16_e32 v108, v81, v76
	v_lshrrev_b32_e32 v106, 16, v19
	v_mul_u32_u24_e32 v15, 0xcccd, v36
	v_lshrrev_b32_e32 v107, 16, v77
	v_mul_f16_e32 v81, v73, v16
	v_mul_f16_e32 v74, v82, v16
	v_fmac_f16_e32 v80, v18, v75
	v_lshrrev_b32_e32 v15, 19, v15
	v_mul_f16_e32 v110, v106, v107
	v_mul_f16_e32 v18, v19, v107
	v_fmac_f16_e32 v81, v82, v78
	v_fma_f16 v78, v73, v78, -v74
	v_mul_lo_u16 v16, v15, 10
	v_fmac_f16_e32 v110, v19, v77
	v_fma_f16 v77, v106, v77, -v18
	ds_load_2addr_b32 v[73:74], v51 offset0:50 offset1:131
	v_lshlrev_b32_e32 v14, 2, v14
	v_sub_nc_u16 v16, v4, v16
	v_mul_u32_u24_e32 v15, 0x78, v15
	s_delay_alu instid0(VALU_DEP_3) | instskip(NEXT) | instid1(VALU_DEP_3)
	v_add3_u32 v14, 0, v17, v14
	v_and_b32_e32 v16, 0xffff, v16
	s_delay_alu instid0(VALU_DEP_1)
	v_lshlrev_b32_e32 v19, 3, v16
	v_lshlrev_b32_e32 v16, 2, v16
	global_load_b64 v[18:19], v19, s[4:5]
	v_add3_u32 v15, 0, v15, v16
	s_waitcnt lgkmcnt(0)
	v_lshrrev_b32_e32 v76, 16, v73
	s_waitcnt vmcnt(1)
	v_lshrrev_b32_e32 v75, 16, v71
	v_lshrrev_b32_e32 v107, 16, v72
	s_delay_alu instid0(VALU_DEP_2) | instskip(SKIP_1) | instid1(VALU_DEP_2)
	v_mul_f16_e32 v82, v73, v75
	v_mul_f16_e32 v106, v76, v75
	v_fma_f16 v82, v76, v71, -v82
	ds_load_2addr_b32 v[75:76], v6 offset0:92 offset1:173
	v_fmac_f16_e32 v106, v73, v71
	v_lshrrev_b32_e32 v71, 16, v74
	s_waitcnt lgkmcnt(0)
	v_lshrrev_b32_e32 v112, 16, v75
	v_mul_f16_e32 v113, v75, v107
	s_delay_alu instid0(VALU_DEP_2) | instskip(NEXT) | instid1(VALU_DEP_2)
	v_mul_f16_e32 v107, v112, v107
	v_fma_f16 v112, v112, v72, -v113
	s_delay_alu instid0(VALU_DEP_2) | instskip(SKIP_3) | instid1(VALU_DEP_2)
	v_fmac_f16_e32 v107, v75, v72
	s_waitcnt vmcnt(0)
	v_lshrrev_b32_e32 v72, 16, v18
	v_lshrrev_b32_e32 v75, 16, v19
	v_mul_f16_e32 v73, v71, v72
	v_mul_f16_e32 v72, v74, v72
	s_delay_alu instid0(VALU_DEP_2) | instskip(SKIP_1) | instid1(VALU_DEP_3)
	v_fmac_f16_e32 v73, v74, v18
	v_lshrrev_b32_e32 v74, 16, v76
	v_fma_f16 v71, v71, v18, -v72
	v_add_f16_e32 v18, v95, v93
	v_lshrrev_b32_e32 v72, 16, v94
	s_delay_alu instid0(VALU_DEP_4) | instskip(SKIP_1) | instid1(VALU_DEP_2)
	v_mul_f16_e32 v113, v74, v75
	v_mul_f16_e32 v75, v76, v75
	v_fmac_f16_e32 v113, v76, v19
	s_delay_alu instid0(VALU_DEP_2)
	v_fma_f16 v19, v74, v19, -v75
	v_add_f16_e32 v74, v94, v95
	v_fmac_f16_e32 v94, -0.5, v18
	v_add_f16_e32 v18, v72, v87
	v_add_f16_e32 v75, v87, v32
	v_sub_f16_e32 v76, v87, v32
	s_delay_alu instid0(VALU_DEP_3)
	v_add_f16_e32 v18, v18, v32
	v_add_f16_e32 v32, v74, v93
	v_sub_f16_e32 v74, v95, v93
	v_fmac_f16_e32 v72, -0.5, v75
	v_add3_u32 v75, 0, v30, v31
	v_mad_i32_i24 v31, 0xffffffdc, v13, v22
	v_pack_b32_f16 v87, v32, v18
	v_mad_i32_i24 v32, 0xffffffdc, v5, v23
	v_fmamk_f16 v18, v76, 0xbaee, v94
	v_fmamk_f16 v30, v74, 0x3aee, v72
	v_fmac_f16_e32 v94, 0x3aee, v76
	v_fmac_f16_e32 v72, 0xbaee, v74
	ds_load_b32 v95, v32
	v_add_f16_e32 v74, v92, v97
	v_pack_b32_f16 v93, v18, v30
	v_lshl_add_u32 v30, v4, 2, 0
	ds_load_b32 v114, v31
	ds_load_b32 v18, v30
	s_waitcnt lgkmcnt(0)
	s_barrier
	buffer_gl0_inv
	ds_store_2addr_b32 v75, v87, v93 offset1:10
	v_add_f16_e32 v93, v88, v89
	v_pack_b32_f16 v72, v94, v72
	v_lshrrev_b32_e32 v76, 16, v95
	v_add_f16_e32 v87, v95, v92
	v_fmac_f16_e32 v95, -0.5, v74
	s_delay_alu instid0(VALU_DEP_3) | instskip(SKIP_3) | instid1(VALU_DEP_4)
	v_add_f16_e32 v74, v76, v88
	v_sub_f16_e32 v88, v88, v89
	v_fmac_f16_e32 v76, -0.5, v93
	v_add_f16_e32 v87, v87, v97
	v_add_f16_e32 v74, v74, v89
	v_sub_f16_e32 v89, v92, v97
	v_fmamk_f16 v92, v88, 0xbaee, v95
	v_fmac_f16_e32 v95, 0x3aee, v88
	s_delay_alu instid0(VALU_DEP_4) | instskip(NEXT) | instid1(VALU_DEP_4)
	v_pack_b32_f16 v65, v87, v74
	v_fmamk_f16 v88, v89, 0x3aee, v76
	v_fmac_f16_e32 v76, 0xbaee, v89
	s_delay_alu instid0(VALU_DEP_2) | instskip(NEXT) | instid1(VALU_DEP_2)
	v_pack_b32_f16 v74, v92, v88
	v_pack_b32_f16 v76, v95, v76
	ds_store_b32 v75, v72 offset:80
	ds_store_2addr_b32 v58, v65, v74 offset1:10
	v_add_f16_e32 v65, v98, v83
	ds_store_b32 v58, v76 offset:80
	v_lshrrev_b32_e32 v58, 16, v114
	v_add_f16_e32 v72, v114, v98
	v_sub_f16_e32 v75, v90, v91
	v_fmac_f16_e32 v114, -0.5, v65
	v_add_f16_e32 v65, v90, v91
	v_add_f16_e32 v74, v58, v90
	;; [unrolled: 1-line block ×3, first 2 shown]
	s_delay_alu instid0(VALU_DEP_4) | instskip(NEXT) | instid1(VALU_DEP_4)
	v_fmamk_f16 v67, v75, 0xbaee, v114
	v_fmac_f16_e32 v58, -0.5, v65
	v_sub_f16_e32 v65, v98, v83
	v_add_f16_e32 v74, v74, v91
	v_fmac_f16_e32 v114, 0x3aee, v75
	v_lshrrev_b32_e32 v75, 16, v70
	v_sub_f16_e32 v83, v84, v86
	v_fmamk_f16 v76, v65, 0x3aee, v58
	v_fmac_f16_e32 v58, 0xbaee, v65
	v_pack_b32_f16 v65, v72, v74
	v_add_f16_e32 v72, v85, v100
	v_add_f16_e32 v74, v75, v84
	v_pack_b32_f16 v67, v67, v76
	v_add_f16_e32 v76, v70, v85
	v_pack_b32_f16 v58, v114, v58
	v_fmac_f16_e32 v70, -0.5, v72
	v_add_f16_e32 v72, v84, v86
	v_add_f16_e32 v74, v74, v86
	;; [unrolled: 1-line block ×4, first 2 shown]
	s_delay_alu instid0(VALU_DEP_4) | instskip(SKIP_1) | instid1(VALU_DEP_4)
	v_fmac_f16_e32 v75, -0.5, v72
	v_sub_f16_e32 v72, v85, v100
	v_pack_b32_f16 v66, v76, v74
	v_fmamk_f16 v74, v83, 0xbaee, v70
	v_lshrrev_b32_e32 v76, 16, v69
	v_fmac_f16_e32 v70, 0x3aee, v83
	v_add_f16_e32 v83, v96, v101
	v_add_f16_e32 v85, v99, v102
	v_fmamk_f16 v84, v72, 0x3aee, v75
	v_fmac_f16_e32 v75, 0xbaee, v72
	v_add_f16_e32 v72, v76, v99
	v_fmac_f16_e32 v69, -0.5, v83
	v_sub_f16_e32 v83, v99, v102
	v_fmac_f16_e32 v76, -0.5, v85
	v_sub_f16_e32 v85, v96, v101
	v_add_f16_e32 v72, v72, v102
	v_add_f16_e32 v86, v86, v101
	v_fmamk_f16 v87, v83, 0xbaee, v69
	v_pack_b32_f16 v74, v74, v84
	v_fmamk_f16 v88, v85, 0x3aee, v76
	v_pack_b32_f16 v70, v70, v75
	v_pack_b32_f16 v68, v86, v72
	v_fmac_f16_e32 v69, 0x3aee, v83
	v_fmac_f16_e32 v76, 0xbaee, v85
	v_pack_b32_f16 v72, v87, v88
	ds_store_2addr_b32 v61, v65, v67 offset1:10
	ds_store_b32 v61, v58 offset:80
	ds_store_2addr_b32 v62, v66, v74 offset1:10
	ds_store_b32 v62, v70 offset:80
	ds_store_2addr_b32 v64, v68, v72 offset1:10
	v_add_f16_e32 v58, v105, v79
	v_lshrrev_b32_e32 v61, 16, v63
	v_add_f16_e32 v62, v103, v104
	v_add_f16_e32 v65, v63, v105
	;; [unrolled: 1-line block ×3, first 2 shown]
	v_fmac_f16_e32 v63, -0.5, v58
	v_sub_f16_e32 v58, v103, v104
	v_add_f16_e32 v66, v61, v103
	v_fmac_f16_e32 v61, -0.5, v62
	v_sub_f16_e32 v62, v105, v79
	v_lshrrev_b32_e32 v70, 16, v54
	v_fmamk_f16 v67, v58, 0xbaee, v63
	v_fmac_f16_e32 v63, 0x3aee, v58
	v_add_f16_e32 v58, v66, v104
	v_fmamk_f16 v66, v62, 0x3aee, v61
	v_fmac_f16_e32 v61, 0xbaee, v62
	v_add_f16_e32 v62, v109, v111
	v_add_f16_e32 v72, v54, v80
	v_fmac_f16_e32 v54, -0.5, v68
	v_add_f16_e32 v68, v70, v109
	v_sub_f16_e32 v74, v109, v111
	v_fmac_f16_e32 v70, -0.5, v62
	v_add_f16_e32 v62, v72, v108
	v_pack_b32_f16 v69, v69, v76
	v_sub_f16_e32 v72, v80, v108
	v_fmamk_f16 v75, v74, 0xbaee, v54
	v_fmac_f16_e32 v54, 0x3aee, v74
	v_add_f16_e32 v74, v77, v78
	ds_store_b32 v64, v69 offset:80
	v_add_f16_e32 v64, v110, v81
	v_fmamk_f16 v69, v72, 0x3aee, v70
	v_fmac_f16_e32 v70, 0xbaee, v72
	v_lshrrev_b32_e32 v72, 16, v42
	v_add_f16_e32 v76, v42, v110
	v_fmac_f16_e32 v42, -0.5, v64
	v_sub_f16_e32 v64, v77, v78
	v_add_f16_e32 v65, v65, v79
	v_add_f16_e32 v77, v72, v77
	v_fmac_f16_e32 v72, -0.5, v74
	v_sub_f16_e32 v74, v110, v81
	v_fmamk_f16 v79, v64, 0xbaee, v42
	v_fmac_f16_e32 v42, 0x3aee, v64
	v_add_f16_e32 v64, v77, v78
	v_add_f16_e32 v78, v106, v107
	v_fmamk_f16 v77, v74, 0x3aee, v72
	v_fmac_f16_e32 v72, 0xbaee, v74
	v_lshrrev_b32_e32 v74, 16, v41
	v_add_f16_e32 v80, v82, v112
	v_add_f16_e32 v76, v76, v81
	;; [unrolled: 1-line block ×3, first 2 shown]
	v_fmac_f16_e32 v41, -0.5, v78
	v_sub_f16_e32 v78, v82, v112
	v_add_f16_e32 v82, v74, v82
	v_fmac_f16_e32 v74, -0.5, v80
	v_sub_f16_e32 v80, v106, v107
	v_add_f16_e32 v68, v68, v111
	v_fmamk_f16 v83, v78, 0xbaee, v41
	v_fmac_f16_e32 v41, 0x3aee, v78
	v_add_f16_e32 v78, v82, v112
	v_fmamk_f16 v82, v80, 0x3aee, v74
	v_add_f16_e32 v84, v73, v113
	v_fmac_f16_e32 v74, 0xbaee, v80
	v_lshrrev_b32_e32 v80, 16, v18
	v_add_f16_e32 v85, v71, v19
	v_pack_b32_f16 v58, v65, v58
	v_pack_b32_f16 v59, v67, v66
	;; [unrolled: 1-line block ×5, first 2 shown]
	v_add_f16_e32 v81, v81, v107
	v_add_f16_e32 v86, v18, v73
	v_fmac_f16_e32 v18, -0.5, v84
	v_sub_f16_e32 v84, v71, v19
	v_add_f16_e32 v71, v80, v71
	v_fmac_f16_e32 v80, -0.5, v85
	v_sub_f16_e32 v73, v73, v113
	ds_store_2addr_b32 v43, v58, v59 offset1:10
	ds_store_b32 v43, v61 offset:80
	ds_store_2addr_b32 v56, v60, v62 offset1:10
	v_pack_b32_f16 v43, v54, v70
	v_add3_u32 v54, 0, v55, v57
	v_pack_b32_f16 v55, v76, v64
	v_pack_b32_f16 v57, v79, v77
	;; [unrolled: 1-line block ×3, first 2 shown]
	v_add_f16_e32 v85, v86, v113
	v_fmamk_f16 v86, v84, 0xbaee, v18
	v_add_f16_e32 v19, v71, v19
	v_fmamk_f16 v71, v73, 0x3aee, v80
	ds_store_b32 v56, v43 offset:80
	ds_store_2addr_b32 v54, v55, v57 offset1:10
	v_lshrrev_b16 v57, 12, v40
	v_pack_b32_f16 v17, v81, v78
	v_pack_b32_f16 v40, v83, v82
	ds_store_b32 v54, v42 offset:80
	ds_store_2addr_b32 v14, v17, v40 offset1:10
	v_pack_b32_f16 v17, v41, v74
	v_lshrrev_b16 v59, 12, v39
	v_pack_b32_f16 v16, v85, v19
	v_pack_b32_f16 v19, v86, v71
	v_fmac_f16_e32 v18, 0x3aee, v84
	v_fmac_f16_e32 v80, 0xbaee, v73
	ds_store_b32 v14, v17 offset:80
	ds_store_2addr_b32 v15, v16, v19 offset1:10
	v_mul_lo_u16 v16, v59, 30
	v_mul_lo_u16 v17, 0x89, v20
	;; [unrolled: 1-line block ×3, first 2 shown]
	v_pack_b32_f16 v18, v18, v80
	v_and_b32_e32 v57, 0xffff, v57
	v_sub_nc_u16 v16, v5, v16
	v_lshrrev_b16 v62, 12, v17
	v_sub_nc_u16 v40, v0, v43
	ds_store_b32 v15, v18 offset:80
	v_mul_u32_u24_e32 v18, 0x8889, v21
	v_and_b32_e32 v64, 0xff, v16
	v_mul_lo_u16 v16, v62, 30
	v_and_b32_e32 v60, 0xff, v40
	s_waitcnt lgkmcnt(0)
	v_lshrrev_b32_e32 v61, 20, v18
	s_barrier
	v_sub_nc_u16 v16, v13, v16
	v_lshlrev_b32_e32 v14, 3, v60
	buffer_gl0_inv
	v_lshlrev_b32_e32 v17, 3, v64
	v_mul_u32_u24_e32 v18, 0x8889, v37
	v_and_b32_e32 v65, 0xff, v16
	v_mul_lo_u16 v16, v61, 30
	s_clause 0x1
	global_load_b64 v[14:15], v14, s[4:5] offset:80
	global_load_b64 v[66:67], v17, s[4:5] offset:80
	v_mul_u32_u24_e32 v57, 0x168, v57
	v_lshlrev_b32_e32 v60, 2, v60
	v_sub_nc_u16 v19, v12, v16
	v_lshrrev_b32_e32 v16, 20, v18
	v_and_b32_e32 v59, 0xffff, v59
	v_lshlrev_b32_e32 v64, 2, v64
	v_add3_u32 v57, 0, v57, v60
	v_and_b32_e32 v63, 0xffff, v19
	v_mul_u32_u24_e32 v19, 0x8889, v38
	v_mul_u32_u24_e32 v59, 0x168, v59
	v_and_b32_e32 v62, 0xffff, v62
	v_mul_u32_u24_e32 v61, 0x168, v61
	v_lshlrev_b32_e32 v18, 3, v63
	v_lshrrev_b32_e32 v42, 20, v19
	v_mul_u32_u24_e32 v19, 0x8889, v33
	v_add3_u32 v59, 0, v59, v64
	v_mul_u32_u24_e32 v62, 0x168, v62
	global_load_b64 v[71:72], v18, s[4:5] offset:80
	v_lshlrev_b32_e32 v17, 3, v65
	v_lshrrev_b32_e32 v43, 20, v19
	v_mul_u32_u24_e32 v19, 0x8889, v34
	v_lshlrev_b32_e32 v65, 2, v65
	v_lshlrev_b32_e32 v63, 2, v63
	global_load_b64 v[69:70], v17, s[4:5] offset:80
	v_mul_lo_u16 v17, v16, 30
	v_mul_u32_u24_e32 v16, 0x168, v16
	v_add3_u32 v62, 0, v62, v65
	v_add3_u32 v61, 0, v61, v63
	v_mul_lo_u16 v20, 0xb7, v20
	v_sub_nc_u16 v17, v11, v17
	v_mul_u32_u24_e32 v21, 0x2d83, v21
	s_delay_alu instid0(VALU_DEP_2) | instskip(SKIP_2) | instid1(VALU_DEP_3)
	v_and_b32_e32 v54, 0xffff, v17
	v_mul_lo_u16 v17, v42, 30
	v_mul_u32_u24_e32 v42, 0x168, v42
	v_lshlrev_b32_e32 v18, 3, v54
	s_delay_alu instid0(VALU_DEP_3)
	v_sub_nc_u16 v17, v10, v17
	v_lshlrev_b32_e32 v54, 2, v54
	global_load_b64 v[73:74], v18, s[4:5] offset:80
	v_and_b32_e32 v55, 0xffff, v17
	v_mul_lo_u16 v17, v43, 30
	v_add3_u32 v16, 0, v16, v54
	v_mul_u32_u24_e32 v43, 0x168, v43
	s_delay_alu instid0(VALU_DEP_4) | instskip(NEXT) | instid1(VALU_DEP_4)
	v_lshlrev_b32_e32 v18, 3, v55
	v_sub_nc_u16 v17, v9, v17
	v_lshlrev_b32_e32 v55, 2, v55
	global_load_b64 v[75:76], v18, s[4:5] offset:80
	v_lshrrev_b32_e32 v18, 20, v19
	v_and_b32_e32 v56, 0xffff, v17
	v_add3_u32 v42, 0, v42, v55
	s_delay_alu instid0(VALU_DEP_3) | instskip(NEXT) | instid1(VALU_DEP_3)
	v_mul_lo_u16 v17, v18, 30
	v_lshlrev_b32_e32 v19, 3, v56
	v_lshlrev_b32_e32 v56, 2, v56
	s_delay_alu instid0(VALU_DEP_3) | instskip(SKIP_2) | instid1(VALU_DEP_1)
	v_sub_nc_u16 v17, v8, v17
	global_load_b64 v[77:78], v19, s[4:5] offset:80
	v_and_b32_e32 v19, 0xffff, v17
	v_lshlrev_b32_e32 v17, 3, v19
	global_load_b64 v[79:80], v17, s[4:5] offset:80
	ds_load_2addr_b32 v[81:82], v49 offset0:42 offset1:123
	ds_load_2addr_b32 v[83:84], v48 offset0:84 offset1:165
	ds_load_u16 v91, v44 offset:3566
	ds_load_2addr_b32 v[85:86], v53 offset0:76 offset1:157
	ds_load_2addr_b32 v[87:88], v50 offset0:118 offset1:199
	ds_load_b32 v68, v29
	ds_load_b32 v58, v28
	;; [unrolled: 1-line block ×6, first 2 shown]
	s_waitcnt lgkmcnt(10)
	v_lshrrev_b32_e32 v90, 16, v81
	s_waitcnt lgkmcnt(9)
	v_lshrrev_b32_e32 v95, 16, v83
	v_lshrrev_b32_e32 v92, 16, v84
	s_waitcnt vmcnt(7)
	v_lshrrev_b32_e32 v89, 16, v14
	v_lshrrev_b32_e32 v93, 16, v15
	s_delay_alu instid0(VALU_DEP_2) | instskip(SKIP_1) | instid1(VALU_DEP_3)
	v_mul_f16_e32 v94, v89, v90
	v_mul_f16_e32 v89, v89, v81
	;; [unrolled: 1-line block ×4, first 2 shown]
	s_delay_alu instid0(VALU_DEP_4)
	v_fmac_f16_e32 v94, v14, v81
	s_waitcnt vmcnt(6)
	v_lshrrev_b32_e32 v81, 16, v66
	v_fma_f16 v89, v14, v90, -v89
	v_lshrrev_b32_e32 v14, 16, v67
	v_fmac_f16_e32 v96, v15, v83
	v_fma_f16 v83, v15, v95, -v93
	s_waitcnt lgkmcnt(8)
	v_mul_f16_e32 v97, v91, v81
	v_mul_f16_e32 v15, v81, v82
	v_mul_f16_e32 v81, v92, v14
	v_mul_f16_e32 v14, v84, v14
	s_waitcnt lgkmcnt(6)
	v_lshrrev_b32_e32 v93, 16, v87
	v_fmac_f16_e32 v97, v66, v82
	v_fma_f16 v91, v91, v66, -v15
	v_lshrrev_b32_e32 v66, 16, v85
	v_fmac_f16_e32 v81, v84, v67
	s_waitcnt vmcnt(4)
	v_lshrrev_b32_e32 v82, 16, v69
	v_fma_f16 v84, v92, v67, -v14
	ds_load_2addr_b32 v[14:15], v47 offset0:110 offset1:191
	v_lshrrev_b32_e32 v92, 16, v70
	v_lshrrev_b32_e32 v95, 16, v86
	v_mul_f16_e32 v67, v85, v82
	v_mul_f16_e32 v82, v66, v82
	v_lshrrev_b32_e32 v100, 16, v71
	v_mul_f16_e32 v99, v87, v92
	v_mul_f16_e32 v92, v93, v92
	v_fma_f16 v98, v66, v69, -v67
	ds_load_2addr_b32 v[66:67], v52 offset0:152 offset1:233
	v_fmac_f16_e32 v82, v85, v69
	v_lshrrev_b32_e32 v69, 16, v88
	v_lshrrev_b32_e32 v85, 16, v72
	v_mul_f16_e32 v101, v95, v100
	v_mul_f16_e32 v100, v86, v100
	v_fmac_f16_e32 v92, v87, v70
	v_fma_f16 v93, v93, v70, -v99
	v_mul_f16_e32 v87, v69, v85
	v_fmac_f16_e32 v101, v86, v71
	v_fma_f16 v86, v95, v71, -v100
	s_waitcnt vmcnt(3)
	v_lshrrev_b32_e32 v70, 16, v73
	v_mul_f16_e32 v71, v88, v85
	v_fmac_f16_e32 v87, v88, v72
	v_lshrrev_b32_e32 v85, 16, v74
	s_waitcnt lgkmcnt(1)
	v_lshrrev_b32_e32 v88, 16, v14
	v_mul_f16_e32 v95, v14, v70
	v_fma_f16 v99, v69, v72, -v71
	v_lshrrev_b32_e32 v102, 16, v15
	ds_load_b32 v90, v44
	s_waitcnt lgkmcnt(1)
	v_lshrrev_b32_e32 v71, 16, v66
	v_mul_f16_e32 v72, v66, v85
	v_mul_f16_e32 v100, v88, v70
	ds_load_2addr_b32 v[69:70], v46 offset0:16 offset1:97
	v_fma_f16 v88, v88, v73, -v95
	v_mul_f16_e32 v85, v71, v85
	v_fma_f16 v95, v71, v74, -v72
	s_waitcnt vmcnt(2)
	v_lshrrev_b32_e32 v103, 16, v75
	ds_load_2addr_b32 v[71:72], v45 offset0:58 offset1:139
	v_fmac_f16_e32 v100, v14, v73
	v_mul_u32_u24_e32 v14, 0x8889, v35
	v_lshrrev_b32_e32 v104, 16, v67
	v_lshrrev_b32_e32 v105, 16, v76
	v_mul_f16_e32 v106, v102, v103
	v_fmac_f16_e32 v85, v66, v74
	v_lshrrev_b32_e32 v14, 20, v14
	v_mul_f16_e32 v66, v15, v103
	v_mul_f16_e32 v107, v104, v105
	v_fmac_f16_e32 v106, v15, v75
	v_mul_f16_e32 v15, v67, v105
	v_mul_lo_u16 v73, v14, 30
	v_fma_f16 v102, v102, v75, -v66
	v_fmac_f16_e32 v107, v67, v76
	s_waitcnt vmcnt(1)
	v_lshrrev_b32_e32 v66, 16, v77
	s_waitcnt lgkmcnt(1)
	v_lshrrev_b32_e32 v67, 16, v69
	v_fma_f16 v103, v104, v76, -v15
	v_lshrrev_b32_e32 v74, 16, v78
	v_sub_nc_u16 v15, v7, v73
	v_mul_f16_e32 v75, v69, v66
	v_mul_f16_e32 v104, v67, v66
	s_waitcnt lgkmcnt(0)
	v_lshrrev_b32_e32 v66, 16, v71
	v_mul_f16_e32 v73, v71, v74
	v_lshrrev_b32_e32 v76, 16, v70
	s_waitcnt vmcnt(0)
	v_lshrrev_b32_e32 v105, 16, v79
	v_and_b32_e32 v15, 0xffff, v15
	v_mul_f16_e32 v109, v66, v74
	v_fma_f16 v110, v66, v78, -v73
	v_fmac_f16_e32 v104, v69, v77
	v_mul_f16_e32 v111, v76, v105
	v_lshlrev_b32_e32 v66, 3, v15
	v_mul_f16_e32 v69, v70, v105
	v_fma_f16 v108, v67, v77, -v75
	v_fmac_f16_e32 v109, v71, v78
	v_fmac_f16_e32 v111, v70, v79
	global_load_b64 v[73:74], v66, s[4:5] offset:80
	v_lshrrev_b32_e32 v70, 16, v72
	v_lshrrev_b32_e32 v66, 16, v80
	v_fma_f16 v78, v76, v79, -v69
	v_mul_u32_u24_e32 v14, 0x168, v14
	v_lshlrev_b32_e32 v15, 2, v15
	s_delay_alu instid0(VALU_DEP_4) | instskip(SKIP_2) | instid1(VALU_DEP_3)
	v_mul_f16_e32 v77, v70, v66
	v_mul_f16_e32 v71, v72, v66
	v_mul_u32_u24_e32 v66, 0x8889, v36
	v_fmac_f16_e32 v77, v72, v80
	s_delay_alu instid0(VALU_DEP_3) | instskip(NEXT) | instid1(VALU_DEP_3)
	v_fma_f16 v79, v70, v80, -v71
	v_lshrrev_b32_e32 v66, 20, v66
	ds_load_2addr_b32 v[71:72], v51 offset0:50 offset1:131
	v_mul_lo_u16 v67, v66, 30
	s_delay_alu instid0(VALU_DEP_1) | instskip(NEXT) | instid1(VALU_DEP_1)
	v_sub_nc_u16 v67, v4, v67
	v_and_b32_e32 v67, 0xffff, v67
	s_delay_alu instid0(VALU_DEP_1)
	v_lshlrev_b32_e32 v69, 3, v67
	s_waitcnt lgkmcnt(0)
	v_lshrrev_b32_e32 v76, 16, v71
	global_load_b64 v[69:70], v69, s[4:5] offset:80
	s_waitcnt vmcnt(1)
	v_lshrrev_b32_e32 v75, 16, v73
	v_lshrrev_b32_e32 v112, 16, v74
	s_delay_alu instid0(VALU_DEP_2) | instskip(SKIP_1) | instid1(VALU_DEP_2)
	v_mul_f16_e32 v80, v71, v75
	v_mul_f16_e32 v105, v76, v75
	v_fma_f16 v80, v76, v73, -v80
	ds_load_2addr_b32 v[75:76], v6 offset0:92 offset1:173
	v_fmac_f16_e32 v105, v71, v73
	v_lshrrev_b32_e32 v71, 16, v72
	s_waitcnt lgkmcnt(0)
	v_lshrrev_b32_e32 v113, 16, v75
	v_mul_f16_e32 v114, v75, v112
	s_delay_alu instid0(VALU_DEP_2) | instskip(NEXT) | instid1(VALU_DEP_2)
	v_mul_f16_e32 v112, v113, v112
	v_fma_f16 v113, v113, v74, -v114
	s_waitcnt vmcnt(0)
	v_lshrrev_b32_e32 v73, 16, v69
	s_delay_alu instid0(VALU_DEP_3) | instskip(SKIP_1) | instid1(VALU_DEP_3)
	v_fmac_f16_e32 v112, v75, v74
	v_lshrrev_b32_e32 v75, 16, v70
	v_mul_f16_e32 v74, v71, v73
	s_delay_alu instid0(VALU_DEP_1) | instskip(SKIP_2) | instid1(VALU_DEP_2)
	v_fmac_f16_e32 v74, v72, v69
	v_mul_f16_e32 v72, v72, v73
	v_lshrrev_b32_e32 v73, 16, v76
	v_fma_f16 v69, v71, v69, -v72
	s_delay_alu instid0(VALU_DEP_2) | instskip(SKIP_3) | instid1(VALU_DEP_4)
	v_mul_f16_e32 v114, v73, v75
	v_mul_f16_e32 v75, v76, v75
	v_add_f16_e32 v71, v94, v96
	v_lshrrev_b32_e32 v72, 16, v90
	v_fmac_f16_e32 v114, v76, v70
	s_delay_alu instid0(VALU_DEP_4)
	v_fma_f16 v70, v73, v70, -v75
	v_add_f16_e32 v75, v89, v83
	v_add_f16_e32 v73, v90, v94
	v_fmac_f16_e32 v90, -0.5, v71
	v_add_f16_e32 v71, v72, v89
	v_sub_f16_e32 v76, v89, v83
	v_fmac_f16_e32 v72, -0.5, v75
	v_sub_f16_e32 v75, v94, v96
	v_add_f16_e32 v73, v73, v96
	v_add_f16_e32 v71, v71, v83
	v_fmamk_f16 v83, v76, 0xbaee, v90
	v_fmac_f16_e32 v90, 0x3aee, v76
	v_fmamk_f16 v76, v75, 0x3aee, v72
	v_fmac_f16_e32 v72, 0xbaee, v75
	v_pack_b32_f16 v60, v73, v71
	v_add_f16_e32 v94, v91, v84
	s_delay_alu instid0(VALU_DEP_4)
	v_pack_b32_f16 v71, v83, v76
	ds_load_b32 v73, v32
	ds_load_b32 v75, v31
	;; [unrolled: 1-line block ×3, first 2 shown]
	v_add_f16_e32 v83, v97, v81
	v_pack_b32_f16 v72, v90, v72
	s_waitcnt lgkmcnt(0)
	s_barrier
	buffer_gl0_inv
	v_lshrrev_b32_e32 v89, 16, v73
	v_add_f16_e32 v90, v73, v97
	v_fmac_f16_e32 v73, -0.5, v83
	s_delay_alu instid0(VALU_DEP_3) | instskip(SKIP_2) | instid1(VALU_DEP_3)
	v_add_f16_e32 v83, v89, v91
	v_sub_f16_e32 v91, v91, v84
	v_fmac_f16_e32 v89, -0.5, v94
	v_add_f16_e32 v83, v83, v84
	v_add_f16_e32 v84, v90, v81
	v_sub_f16_e32 v81, v97, v81
	v_add_f16_e32 v90, v74, v114
	s_delay_alu instid0(VALU_DEP_3) | instskip(SKIP_1) | instid1(VALU_DEP_4)
	v_pack_b32_f16 v64, v84, v83
	v_fmamk_f16 v83, v91, 0xbaee, v73
	v_fmamk_f16 v84, v81, 0x3aee, v89
	v_fmac_f16_e32 v73, 0x3aee, v91
	v_fmac_f16_e32 v89, 0xbaee, v81
	v_add_f16_e32 v91, v69, v70
	s_delay_alu instid0(VALU_DEP_4)
	v_pack_b32_f16 v83, v83, v84
	ds_store_2addr_b32 v57, v60, v71 offset1:30
	ds_store_b32 v57, v72 offset:240
	ds_store_2addr_b32 v59, v64, v83 offset1:30
	v_add_f16_e32 v57, v82, v92
	v_lshrrev_b32_e32 v64, 16, v75
	v_add_f16_e32 v71, v75, v82
	v_pack_b32_f16 v60, v73, v89
	v_sub_f16_e32 v73, v98, v93
	v_fmac_f16_e32 v75, -0.5, v57
	v_add_f16_e32 v57, v98, v93
	v_add_f16_e32 v72, v64, v98
	;; [unrolled: 1-line block ×3, first 2 shown]
	ds_store_b32 v59, v60 offset:240
	v_fmamk_f16 v65, v73, 0xbaee, v75
	v_fmac_f16_e32 v64, -0.5, v57
	v_sub_f16_e32 v57, v82, v92
	v_add_f16_e32 v72, v72, v93
	v_fmac_f16_e32 v75, 0x3aee, v73
	v_add_f16_e32 v59, v100, v85
	v_add_f16_e32 v60, v88, v95
	v_fmamk_f16 v81, v57, 0x3aee, v64
	v_fmac_f16_e32 v64, 0xbaee, v57
	v_lshrrev_b32_e32 v57, 16, v68
	v_pack_b32_f16 v71, v71, v72
	v_add_f16_e32 v72, v101, v87
	v_pack_b32_f16 v65, v65, v81
	v_pack_b32_f16 v64, v75, v64
	v_add_f16_e32 v75, v86, v99
	v_add_f16_e32 v73, v57, v86
	;; [unrolled: 1-line block ×3, first 2 shown]
	v_fmac_f16_e32 v68, -0.5, v72
	v_sub_f16_e32 v72, v86, v99
	v_fmac_f16_e32 v57, -0.5, v75
	v_sub_f16_e32 v75, v101, v87
	v_add_f16_e32 v73, v73, v99
	v_add_f16_e32 v81, v81, v87
	v_fmamk_f16 v82, v72, 0xbaee, v68
	v_fmac_f16_e32 v68, 0x3aee, v72
	v_fmamk_f16 v83, v75, 0x3aee, v57
	v_fmac_f16_e32 v57, 0xbaee, v75
	v_pack_b32_f16 v63, v81, v73
	v_add_f16_e32 v73, v104, v109
	v_add_f16_e32 v75, v108, v110
	v_pack_b32_f16 v72, v82, v83
	v_pack_b32_f16 v57, v68, v57
	ds_store_2addr_b32 v62, v71, v65 offset1:30
	ds_store_b32 v62, v64 offset:240
	ds_store_2addr_b32 v61, v63, v72 offset1:30
	v_add_f16_e32 v64, v106, v107
	v_add_f16_e32 v65, v102, v103
	ds_store_b32 v61, v57 offset:240
	v_lshrrev_b32_e32 v57, 16, v58
	v_add_f16_e32 v61, v58, v100
	v_fmac_f16_e32 v58, -0.5, v59
	v_sub_f16_e32 v59, v88, v95
	v_add_f16_e32 v68, v41, v106
	v_add_f16_e32 v62, v57, v88
	v_fmac_f16_e32 v57, -0.5, v60
	v_sub_f16_e32 v60, v100, v85
	v_fmamk_f16 v63, v59, 0xbaee, v58
	v_fmac_f16_e32 v58, 0x3aee, v59
	v_add_f16_e32 v59, v62, v95
	v_add_f16_e32 v81, v40, v104
	v_fmamk_f16 v62, v60, 0x3aee, v57
	v_fmac_f16_e32 v57, 0xbaee, v60
	v_lshrrev_b32_e32 v60, 16, v41
	v_fmac_f16_e32 v41, -0.5, v64
	v_sub_f16_e32 v64, v102, v103
	v_add_f16_e32 v61, v61, v85
	v_add_f16_e32 v84, v111, v77
	;; [unrolled: 1-line block ×3, first 2 shown]
	v_fmac_f16_e32 v60, -0.5, v65
	v_sub_f16_e32 v65, v106, v107
	v_fmamk_f16 v72, v64, 0xbaee, v41
	v_fmac_f16_e32 v41, 0x3aee, v64
	v_add_f16_e32 v64, v71, v103
	v_add_f16_e32 v85, v78, v79
	v_fmamk_f16 v71, v65, 0x3aee, v60
	v_fmac_f16_e32 v60, 0xbaee, v65
	v_lshrrev_b32_e32 v65, 16, v40
	v_fmac_f16_e32 v40, -0.5, v73
	v_sub_f16_e32 v73, v108, v110
	v_add_f16_e32 v86, v39, v111
	v_add_f16_e32 v87, v80, v113
	;; [unrolled: 1-line block ×3, first 2 shown]
	v_fmac_f16_e32 v65, -0.5, v75
	v_sub_f16_e32 v75, v104, v109
	v_fmamk_f16 v83, v73, 0xbaee, v40
	v_fmac_f16_e32 v40, 0x3aee, v73
	v_add_f16_e32 v73, v82, v110
	v_add_f16_e32 v68, v68, v107
	v_fmamk_f16 v82, v75, 0x3aee, v65
	v_fmac_f16_e32 v65, 0xbaee, v75
	v_lshrrev_b32_e32 v75, 16, v39
	v_fmac_f16_e32 v39, -0.5, v84
	v_sub_f16_e32 v84, v78, v79
	v_pack_b32_f16 v54, v61, v59
	v_pack_b32_f16 v59, v63, v62
	v_add_f16_e32 v78, v75, v78
	v_fmac_f16_e32 v75, -0.5, v85
	v_sub_f16_e32 v85, v111, v77
	v_add_f16_e32 v77, v86, v77
	v_fmamk_f16 v86, v84, 0xbaee, v39
	v_fmac_f16_e32 v39, 0x3aee, v84
	v_add_f16_e32 v78, v78, v79
	v_fmamk_f16 v79, v85, 0x3aee, v75
	v_add_f16_e32 v84, v105, v112
	v_fmac_f16_e32 v75, 0xbaee, v85
	v_lshrrev_b32_e32 v85, 16, v17
	v_add_f16_e32 v88, v17, v105
	v_pack_b32_f16 v57, v58, v57
	v_fmac_f16_e32 v17, -0.5, v84
	v_sub_f16_e32 v84, v80, v113
	v_add_f16_e32 v80, v85, v80
	v_fmac_f16_e32 v85, -0.5, v87
	v_sub_f16_e32 v87, v105, v112
	v_pack_b32_f16 v55, v68, v64
	v_pack_b32_f16 v58, v72, v71
	ds_store_2addr_b32 v16, v54, v59 offset1:30
	ds_store_b32 v16, v57 offset:240
	ds_store_2addr_b32 v42, v55, v58 offset1:30
	v_pack_b32_f16 v16, v41, v60
	v_add_f16_e32 v81, v81, v109
	v_fmamk_f16 v89, v84, 0xbaee, v17
	v_fmac_f16_e32 v17, 0x3aee, v84
	v_fmamk_f16 v84, v87, 0x3aee, v85
	v_fmac_f16_e32 v85, 0xbaee, v87
	v_lshrrev_b32_e32 v87, 16, v76
	ds_store_b32 v42, v16 offset:240
	v_mul_u32_u24_e32 v16, 0x168, v18
	v_lshlrev_b32_e32 v18, 2, v19
	v_add_f16_e32 v92, v76, v74
	v_fmac_f16_e32 v76, -0.5, v90
	v_sub_f16_e32 v90, v69, v70
	v_add_f16_e32 v69, v87, v69
	v_fmac_f16_e32 v87, -0.5, v91
	v_sub_f16_e32 v74, v74, v114
	v_add3_u32 v41, 0, v43, v56
	v_pack_b32_f16 v43, v81, v73
	v_pack_b32_f16 v54, v83, v82
	v_add_f16_e32 v88, v88, v112
	v_add_f16_e32 v80, v80, v113
	v_pack_b32_f16 v40, v40, v65
	v_add3_u32 v16, 0, v16, v18
	v_pack_b32_f16 v18, v77, v78
	v_pack_b32_f16 v19, v86, v79
	v_add_f16_e32 v91, v92, v114
	v_fmamk_f16 v92, v90, 0xbaee, v76
	v_add_f16_e32 v69, v69, v70
	v_fmamk_f16 v70, v74, 0x3aee, v87
	ds_store_2addr_b32 v41, v43, v54 offset1:30
	ds_store_b32 v41, v40 offset:240
	v_pack_b32_f16 v39, v39, v75
	v_mul_u32_u24_e32 v41, 0x168, v66
	v_lshlrev_b32_e32 v42, 2, v67
	v_add3_u32 v40, 0, v14, v15
	v_pack_b32_f16 v14, v88, v80
	v_pack_b32_f16 v15, v89, v84
	ds_store_2addr_b32 v16, v18, v19 offset1:30
	ds_store_b32 v16, v39 offset:240
	ds_store_2addr_b32 v40, v14, v15 offset1:30
	v_pack_b32_f16 v16, v17, v85
	v_add3_u32 v18, 0, v41, v42
	v_pack_b32_f16 v17, v91, v69
	v_pack_b32_f16 v19, v92, v70
	v_fmac_f16_e32 v76, 0x3aee, v90
	v_fmac_f16_e32 v87, 0xbaee, v74
	ds_store_b32 v40, v16 offset:240
	ds_store_2addr_b32 v18, v17, v19 offset1:30
	v_add_nc_u32_e32 v19, -9, v0
	v_mov_b32_e32 v15, 0
	v_pack_b32_f16 v39, v76, v87
	v_lshlrev_b32_e32 v14, 1, v0
	v_lshrrev_b16 v58, 14, v20
	v_cndmask_b32_e64 v56, v19, v5, s0
	v_mov_b32_e32 v19, v15
	ds_store_b32 v18, v39 offset:240
	v_lshlrev_b64 v[16:17], 2, v[14:15]
	v_mul_lo_u16 v20, 0x5a, v58
	v_lshlrev_b32_e32 v18, 1, v56
	v_lshrrev_b32_e32 v55, 20, v21
	s_waitcnt lgkmcnt(0)
	s_barrier
	v_add_co_u32 v16, s0, s4, v16
	v_lshlrev_b64 v[18:19], 2, v[18:19]
	v_add_co_ci_u32_e64 v17, s0, s5, v17, s0
	buffer_gl0_inv
	v_sub_nc_u16 v20, v13, v20
	v_lshlrev_b32_e32 v56, 2, v56
	v_add_co_u32 v18, s0, s4, v18
	s_delay_alu instid0(VALU_DEP_1)
	v_add_co_ci_u32_e64 v19, s0, s5, v19, s0
	global_load_b64 v[64:65], v[16:17], off offset:320
	v_and_b32_e32 v61, 0xff, v20
	v_cmp_lt_u32_e64 s0, 8, v0
	global_load_b64 v[66:67], v[18:19], off offset:320
	v_mul_lo_u16 v18, 0x5a, v55
	v_mul_u32_u24_e32 v19, 0x2d83, v37
	v_lshlrev_b32_e32 v20, 3, v61
	v_and_b32_e32 v58, 0xffff, v58
	v_lshlrev_b32_e32 v61, 2, v61
	v_sub_nc_u16 v18, v12, v18
	v_lshrrev_b32_e32 v39, 20, v19
	global_load_b64 v[68:69], v20, s[4:5] offset:320
	v_mul_u32_u24_e32 v58, 0x438, v58
	v_mul_u32_u24_e32 v55, 0x438, v55
	v_and_b32_e32 v59, 0xffff, v18
	v_mul_u32_u24_e32 v18, 0x2d83, v38
	v_mul_lo_u16 v19, 0x5a, v39
	v_add3_u32 v58, 0, v58, v61
	v_mul_u32_u24_e32 v39, 0x438, v39
	v_lshlrev_b32_e32 v21, 3, v59
	v_lshrrev_b32_e32 v20, 20, v18
	v_sub_nc_u16 v18, v11, v19
	v_lshlrev_b32_e32 v59, 2, v59
	global_load_b64 v[70:71], v21, s[4:5] offset:320
	v_mul_lo_u16 v19, 0x5a, v20
	v_and_b32_e32 v60, 0xffff, v18
	v_add3_u32 v55, 0, v55, v59
	v_mul_u32_u24_e32 v20, 0x438, v20
	s_delay_alu instid0(VALU_DEP_4) | instskip(NEXT) | instid1(VALU_DEP_4)
	v_sub_nc_u16 v18, v10, v19
	v_lshlrev_b32_e32 v19, 3, v60
	v_lshlrev_b32_e32 v60, 2, v60
	s_delay_alu instid0(VALU_DEP_3)
	v_and_b32_e32 v37, 0xffff, v18
	global_load_b64 v[72:73], v19, s[4:5] offset:320
	v_mul_u32_u24_e32 v18, 0x2d83, v33
	v_add3_u32 v39, 0, v39, v60
	v_mul_u32_u24_e32 v33, 0x795d, v33
	v_lshlrev_b32_e32 v19, 3, v37
	v_lshlrev_b32_e32 v37, 2, v37
	v_lshrrev_b32_e32 v21, 20, v18
	s_delay_alu instid0(VALU_DEP_4) | instskip(SKIP_4) | instid1(VALU_DEP_2)
	v_lshrrev_b32_e32 v33, 23, v33
	global_load_b64 v[74:75], v19, s[4:5] offset:320
	v_add3_u32 v20, 0, v20, v37
	v_mul_lo_u16 v18, 0x5a, v21
	v_mul_u32_u24_e32 v21, 0x438, v21
	v_sub_nc_u16 v38, v9, v18
	s_delay_alu instid0(VALU_DEP_1) | instskip(NEXT) | instid1(VALU_DEP_1)
	v_and_b32_e32 v38, 0xffff, v38
	v_lshlrev_b32_e32 v40, 3, v38
	v_lshlrev_b32_e32 v38, 2, v38
	global_load_b64 v[76:77], v40, s[4:5] offset:320
	v_mul_u32_u24_e32 v19, 0x2d83, v34
	v_mul_u32_u24_e32 v34, 0x795d, v34
	s_delay_alu instid0(VALU_DEP_2) | instskip(NEXT) | instid1(VALU_DEP_2)
	v_lshrrev_b32_e32 v18, 20, v19
	v_lshrrev_b32_e32 v34, 23, v34
	s_delay_alu instid0(VALU_DEP_2) | instskip(SKIP_1) | instid1(VALU_DEP_3)
	v_mul_lo_u16 v19, 0x5a, v18
	v_mul_u32_u24_e32 v18, 0x438, v18
	v_mul_lo_u16 v34, 0x10e, v34
	s_delay_alu instid0(VALU_DEP_3) | instskip(NEXT) | instid1(VALU_DEP_2)
	v_sub_nc_u16 v19, v8, v19
	v_sub_nc_u16 v34, v8, v34
	s_delay_alu instid0(VALU_DEP_2) | instskip(NEXT) | instid1(VALU_DEP_2)
	v_and_b32_e32 v19, 0xffff, v19
	v_and_b32_e32 v34, 0xffff, v34
	s_delay_alu instid0(VALU_DEP_2)
	v_lshlrev_b32_e32 v40, 3, v19
	v_lshlrev_b32_e32 v19, 2, v19
	global_load_b64 v[78:79], v40, s[4:5] offset:320
	v_mul_u32_u24_e32 v40, 0x2d83, v35
	v_add3_u32 v18, 0, v18, v19
	v_mul_u32_u24_e32 v35, 0x795d, v35
	s_delay_alu instid0(VALU_DEP_3) | instskip(NEXT) | instid1(VALU_DEP_2)
	v_lshrrev_b32_e32 v40, 20, v40
	v_lshrrev_b32_e32 v35, 23, v35
	s_delay_alu instid0(VALU_DEP_2) | instskip(SKIP_1) | instid1(VALU_DEP_3)
	v_mul_lo_u16 v41, 0x5a, v40
	v_mul_u32_u24_e32 v40, 0x438, v40
	v_mul_lo_u16 v35, 0x10e, v35
	s_delay_alu instid0(VALU_DEP_3) | instskip(NEXT) | instid1(VALU_DEP_2)
	v_sub_nc_u16 v41, v7, v41
	v_sub_nc_u16 v35, v7, v35
	s_delay_alu instid0(VALU_DEP_2) | instskip(NEXT) | instid1(VALU_DEP_2)
	v_and_b32_e32 v42, 0xffff, v41
	v_and_b32_e32 v35, 0xffff, v35
	s_delay_alu instid0(VALU_DEP_2) | instskip(SKIP_4) | instid1(VALU_DEP_2)
	v_lshlrev_b32_e32 v41, 3, v42
	v_lshlrev_b32_e32 v42, 2, v42
	global_load_b64 v[80:81], v41, s[4:5] offset:320
	v_mul_u32_u24_e32 v41, 0x2d83, v36
	v_mul_u32_u24_e32 v36, 0x795d, v36
	v_lshrrev_b32_e32 v41, 20, v41
	s_delay_alu instid0(VALU_DEP_2) | instskip(NEXT) | instid1(VALU_DEP_2)
	v_lshrrev_b32_e32 v36, 23, v36
	v_mul_lo_u16 v41, 0x5a, v41
	s_delay_alu instid0(VALU_DEP_2) | instskip(NEXT) | instid1(VALU_DEP_2)
	v_mul_lo_u16 v36, 0x10e, v36
	v_sub_nc_u16 v41, v4, v41
	s_delay_alu instid0(VALU_DEP_2) | instskip(NEXT) | instid1(VALU_DEP_2)
	v_sub_nc_u16 v36, v4, v36
	v_and_b32_e32 v41, 0xffff, v41
	s_delay_alu instid0(VALU_DEP_2) | instskip(NEXT) | instid1(VALU_DEP_2)
	v_and_b32_e32 v36, 0xffff, v36
	v_lshlrev_b32_e32 v43, 3, v41
	global_load_b64 v[82:83], v43, s[4:5] offset:320
	ds_load_2addr_b32 v[84:85], v48 offset0:84 offset1:165
	ds_load_2addr_b32 v[86:87], v49 offset0:42 offset1:123
	;; [unrolled: 1-line block ×4, first 2 shown]
	ds_load_u16 v94, v44 offset:3566
	ds_load_b32 v98, v29
	ds_load_b32 v63, v28
	;; [unrolled: 1-line block ×6, first 2 shown]
	s_waitcnt lgkmcnt(10)
	v_lshrrev_b32_e32 v97, 16, v84
	s_waitcnt lgkmcnt(9)
	v_lshrrev_b32_e32 v96, 16, v86
	v_lshrrev_b32_e32 v92, 16, v85
	s_waitcnt lgkmcnt(8)
	v_lshrrev_b32_e32 v102, 16, v89
	s_waitcnt lgkmcnt(7)
	v_lshrrev_b32_e32 v103, 16, v91
	s_waitcnt vmcnt(9)
	v_lshrrev_b32_e32 v93, 16, v64
	v_lshrrev_b32_e32 v95, 16, v65
	s_waitcnt vmcnt(8)
	v_lshrrev_b32_e32 v101, 16, v66
	s_delay_alu instid0(VALU_DEP_3) | instskip(SKIP_3) | instid1(VALU_DEP_4)
	v_mul_f16_e32 v99, v93, v96
	v_mul_f16_e32 v93, v93, v86
	;; [unrolled: 1-line block ×4, first 2 shown]
	v_fmac_f16_e32 v99, v64, v86
	s_delay_alu instid0(VALU_DEP_4) | instskip(NEXT) | instid1(VALU_DEP_4)
	v_fma_f16 v86, v64, v96, -v93
	v_fmac_f16_e32 v100, v65, v84
	s_delay_alu instid0(VALU_DEP_4)
	v_fma_f16 v84, v65, v97, -v95
	s_waitcnt lgkmcnt(6)
	v_mul_f16_e32 v95, v94, v101
	v_lshrrev_b32_e32 v64, 16, v67
	v_mul_f16_e32 v65, v101, v87
	s_waitcnt vmcnt(7)
	v_lshrrev_b32_e32 v101, 16, v68
	v_lshrrev_b32_e32 v96, 16, v88
	v_fmac_f16_e32 v95, v66, v87
	v_mul_f16_e32 v87, v92, v64
	v_mul_f16_e32 v64, v85, v64
	v_fma_f16 v94, v94, v66, -v65
	v_mul_f16_e32 v66, v88, v101
	v_lshrrev_b32_e32 v97, 16, v90
	v_fmac_f16_e32 v87, v85, v67
	v_fma_f16 v85, v92, v67, -v64
	v_lshrrev_b32_e32 v92, 16, v69
	ds_load_2addr_b32 v[64:65], v47 offset0:110 offset1:191
	v_mul_f16_e32 v101, v96, v101
	v_fma_f16 v96, v96, v68, -v66
	ds_load_2addr_b32 v[66:67], v52 offset0:152 offset1:233
	v_mul_f16_e32 v104, v90, v92
	s_waitcnt vmcnt(6)
	v_lshrrev_b32_e32 v105, 16, v70
	v_lshrrev_b32_e32 v106, 16, v71
	v_mul_f16_e32 v92, v97, v92
	v_fmac_f16_e32 v101, v88, v68
	v_fma_f16 v88, v97, v69, -v104
	v_mul_f16_e32 v97, v102, v105
	v_mul_f16_e32 v104, v103, v106
	v_fmac_f16_e32 v92, v90, v69
	v_mul_f16_e32 v69, v91, v106
	v_mul_f16_e32 v68, v89, v105
	v_fmac_f16_e32 v97, v89, v70
	v_fmac_f16_e32 v104, v91, v71
	s_waitcnt vmcnt(5)
	v_lshrrev_b32_e32 v89, 16, v72
	v_fma_f16 v91, v103, v71, -v69
	v_lshrrev_b32_e32 v69, 16, v73
	v_fma_f16 v90, v102, v70, -v68
	s_waitcnt lgkmcnt(1)
	v_lshrrev_b32_e32 v68, 16, v64
	v_mul_f16_e32 v70, v64, v89
	s_waitcnt lgkmcnt(0)
	v_lshrrev_b32_e32 v71, 16, v66
	v_lshrrev_b32_e32 v102, 16, v65
	s_waitcnt vmcnt(4)
	v_lshrrev_b32_e32 v103, 16, v74
	v_mul_f16_e32 v105, v66, v69
	v_mul_f16_e32 v89, v68, v89
	;; [unrolled: 1-line block ×3, first 2 shown]
	v_fma_f16 v107, v68, v72, -v70
	v_mul_f16_e32 v108, v102, v103
	v_fma_f16 v105, v71, v73, -v105
	ds_load_2addr_b32 v[68:69], v46 offset0:16 offset1:97
	ds_load_2addr_b32 v[70:71], v45 offset0:58 offset1:139
	v_fmac_f16_e32 v89, v64, v72
	v_fmac_f16_e32 v106, v66, v73
	v_fmac_f16_e32 v108, v65, v74
	v_mul_f16_e32 v64, v65, v103
	v_lshrrev_b32_e32 v65, 16, v67
	v_lshrrev_b32_e32 v66, 16, v75
	ds_load_b32 v93, v44
	v_add_f16_e32 v111, v94, v85
	v_fma_f16 v73, v102, v74, -v64
	s_waitcnt vmcnt(3)
	v_lshrrev_b32_e32 v64, 16, v77
	v_mul_f16_e32 v72, v65, v66
	v_mul_f16_e32 v66, v67, v66
	s_delay_alu instid0(VALU_DEP_2) | instskip(SKIP_1) | instid1(VALU_DEP_3)
	v_fmac_f16_e32 v72, v67, v75
	v_lshrrev_b32_e32 v67, 16, v76
	v_fma_f16 v74, v65, v75, -v66
	s_waitcnt lgkmcnt(2)
	v_lshrrev_b32_e32 v65, 16, v68
	s_waitcnt lgkmcnt(1)
	v_lshrrev_b32_e32 v75, 16, v70
	v_mul_f16_e32 v102, v70, v64
	v_mul_f16_e32 v66, v68, v67
	;; [unrolled: 1-line block ×3, first 2 shown]
	s_delay_alu instid0(VALU_DEP_4) | instskip(NEXT) | instid1(VALU_DEP_4)
	v_mul_f16_e32 v110, v75, v64
	v_fma_f16 v75, v75, v77, -v102
	s_delay_alu instid0(VALU_DEP_4) | instskip(SKIP_3) | instid1(VALU_DEP_1)
	v_fma_f16 v109, v65, v76, -v66
	v_lshrrev_b32_e32 v66, 16, v69
	v_fmac_f16_e32 v103, v68, v76
	v_fmac_f16_e32 v110, v70, v77
	v_sub_f16_e32 v60, v103, v110
	s_waitcnt vmcnt(2)
	v_lshrrev_b32_e32 v64, 16, v78
	s_delay_alu instid0(VALU_DEP_1) | instskip(SKIP_2) | instid1(VALU_DEP_3)
	v_mul_f16_e32 v68, v66, v64
	v_mul_f16_e32 v67, v69, v64
	v_lshrrev_b32_e32 v64, 16, v79
	v_fmac_f16_e32 v68, v69, v78
	v_lshrrev_b32_e32 v69, 16, v71
	s_delay_alu instid0(VALU_DEP_3) | instskip(NEXT) | instid1(VALU_DEP_2)
	v_mul_f16_e32 v76, v71, v64
	v_mul_f16_e32 v70, v69, v64
	ds_load_2addr_b32 v[64:65], v51 offset0:50 offset1:131
	v_fma_f16 v69, v69, v79, -v76
	v_fmac_f16_e32 v70, v71, v79
	v_fma_f16 v71, v66, v78, -v67
	s_waitcnt vmcnt(1)
	v_lshrrev_b32_e32 v66, 16, v80
	v_lshrrev_b32_e32 v78, 16, v81
	s_waitcnt lgkmcnt(0)
	v_lshrrev_b32_e32 v67, 16, v64
	s_delay_alu instid0(VALU_DEP_3) | instskip(NEXT) | instid1(VALU_DEP_2)
	v_mul_f16_e32 v76, v64, v66
	v_mul_f16_e32 v77, v67, v66
	s_delay_alu instid0(VALU_DEP_2)
	v_fma_f16 v76, v67, v80, -v76
	ds_load_2addr_b32 v[66:67], v6 offset0:92 offset1:173
	v_fmac_f16_e32 v77, v64, v80
	v_lshrrev_b32_e32 v64, 16, v65
	s_waitcnt lgkmcnt(0)
	v_lshrrev_b32_e32 v79, 16, v66
	v_mul_f16_e32 v102, v66, v78
	s_delay_alu instid0(VALU_DEP_2) | instskip(NEXT) | instid1(VALU_DEP_2)
	v_mul_f16_e32 v78, v79, v78
	v_fma_f16 v79, v79, v81, -v102
	s_delay_alu instid0(VALU_DEP_2) | instskip(SKIP_3) | instid1(VALU_DEP_2)
	v_fmac_f16_e32 v78, v66, v81
	s_waitcnt vmcnt(0)
	v_lshrrev_b32_e32 v66, 16, v82
	v_lshrrev_b32_e32 v81, 16, v83
	v_mul_f16_e32 v80, v64, v66
	s_delay_alu instid0(VALU_DEP_1) | instskip(SKIP_2) | instid1(VALU_DEP_2)
	v_fmac_f16_e32 v80, v65, v82
	v_mul_f16_e32 v65, v65, v66
	v_lshrrev_b32_e32 v66, 16, v67
	v_fma_f16 v65, v64, v82, -v65
	s_delay_alu instid0(VALU_DEP_2) | instskip(SKIP_2) | instid1(VALU_DEP_3)
	v_mul_f16_e32 v102, v66, v81
	v_mul_f16_e32 v81, v67, v81
	v_add_f16_e32 v82, v86, v84
	v_fmac_f16_e32 v102, v67, v83
	s_delay_alu instid0(VALU_DEP_3) | instskip(SKIP_4) | instid1(VALU_DEP_4)
	v_fma_f16 v64, v66, v83, -v81
	v_add_f16_e32 v66, v99, v100
	v_lshrrev_b32_e32 v67, 16, v93
	v_add_f16_e32 v81, v93, v99
	v_sub_f16_e32 v83, v86, v84
	v_fmac_f16_e32 v93, -0.5, v66
	s_delay_alu instid0(VALU_DEP_4)
	v_add_f16_e32 v66, v67, v86
	v_fmac_f16_e32 v67, -0.5, v82
	v_add_f16_e32 v81, v81, v100
	v_sub_f16_e32 v82, v99, v100
	v_add_f16_e32 v86, v95, v87
	v_add_f16_e32 v66, v66, v84
	s_delay_alu instid0(VALU_DEP_3) | instskip(SKIP_1) | instid1(VALU_DEP_3)
	v_fmamk_f16 v84, v82, 0x3aee, v67
	v_fmac_f16_e32 v67, 0xbaee, v82
	v_pack_b32_f16 v66, v81, v66
	v_fmamk_f16 v81, v83, 0xbaee, v93
	v_fmac_f16_e32 v93, 0x3aee, v83
	ds_load_b32 v83, v31
	ds_load_b32 v82, v30
	v_pack_b32_f16 v81, v81, v84
	ds_load_b32 v84, v32
	v_pack_b32_f16 v67, v93, v67
	v_cndmask_b32_e64 v93, 0, 0x438, s0
	s_waitcnt lgkmcnt(0)
	s_barrier
	buffer_gl0_inv
	v_add3_u32 v56, 0, v93, v56
	v_lshrrev_b32_e32 v99, 16, v84
	v_add_f16_e32 v100, v84, v95
	v_fmac_f16_e32 v84, -0.5, v86
	s_delay_alu instid0(VALU_DEP_3) | instskip(SKIP_2) | instid1(VALU_DEP_3)
	v_add_f16_e32 v86, v99, v94
	v_sub_f16_e32 v94, v94, v85
	v_fmac_f16_e32 v99, -0.5, v111
	v_add_f16_e32 v85, v86, v85
	v_add_f16_e32 v86, v100, v87
	v_sub_f16_e32 v87, v95, v87
	s_delay_alu instid0(VALU_DEP_2) | instskip(SKIP_1) | instid1(VALU_DEP_3)
	v_pack_b32_f16 v85, v86, v85
	v_fmamk_f16 v86, v94, 0xbaee, v84
	v_fmamk_f16 v93, v87, 0x3aee, v99
	v_fmac_f16_e32 v84, 0x3aee, v94
	v_fmac_f16_e32 v99, 0xbaee, v87
	s_delay_alu instid0(VALU_DEP_3)
	v_pack_b32_f16 v86, v86, v93
	ds_store_2addr_b32 v44, v66, v81 offset1:90
	ds_store_b32 v44, v67 offset:720
	ds_store_2addr_b32 v56, v85, v86 offset1:90
	v_add_f16_e32 v66, v101, v92
	v_lshrrev_b32_e32 v81, 16, v83
	v_pack_b32_f16 v67, v84, v99
	v_add_f16_e32 v84, v83, v101
	v_sub_f16_e32 v86, v96, v88
	v_fmac_f16_e32 v83, -0.5, v66
	v_add_f16_e32 v66, v96, v88
	v_add_f16_e32 v85, v81, v96
	;; [unrolled: 1-line block ×3, first 2 shown]
	ds_store_b32 v56, v67 offset:720
	v_fmamk_f16 v61, v86, 0xbaee, v83
	v_fmac_f16_e32 v81, -0.5, v66
	v_sub_f16_e32 v66, v101, v92
	v_add_f16_e32 v85, v85, v88
	v_fmac_f16_e32 v83, 0x3aee, v86
	v_add_f16_e32 v86, v90, v91
	v_add_f16_e32 v67, v108, v72
	v_fmamk_f16 v87, v66, 0x3aee, v81
	v_fmac_f16_e32 v81, 0xbaee, v66
	v_lshrrev_b32_e32 v66, 16, v98
	v_pack_b32_f16 v84, v84, v85
	v_add_f16_e32 v85, v97, v104
	v_pack_b32_f16 v61, v61, v87
	v_pack_b32_f16 v81, v83, v81
	v_add_f16_e32 v83, v66, v90
	v_add_f16_e32 v87, v98, v97
	v_fmac_f16_e32 v98, -0.5, v85
	v_sub_f16_e32 v85, v90, v91
	v_fmac_f16_e32 v66, -0.5, v86
	v_sub_f16_e32 v86, v97, v104
	v_add_f16_e32 v83, v83, v91
	v_add_f16_e32 v87, v87, v104
	v_fmamk_f16 v88, v85, 0xbaee, v98
	v_fmac_f16_e32 v98, 0x3aee, v85
	v_fmamk_f16 v90, v86, 0x3aee, v66
	v_fmac_f16_e32 v66, 0xbaee, v86
	v_pack_b32_f16 v59, v87, v83
	v_add_f16_e32 v85, v109, v75
	v_add_f16_e32 v86, v82, v80
	v_pack_b32_f16 v83, v88, v90
	v_pack_b32_f16 v56, v98, v66
	ds_store_2addr_b32 v58, v84, v61 offset1:90
	ds_store_b32 v58, v81 offset:720
	ds_store_2addr_b32 v55, v59, v83 offset1:90
	v_add_f16_e32 v58, v89, v106
	v_add_f16_e32 v59, v63, v89
	ds_store_b32 v55, v56 offset:720
	v_lshrrev_b32_e32 v55, 16, v63
	v_add_f16_e32 v56, v107, v105
	v_fmac_f16_e32 v63, -0.5, v58
	v_sub_f16_e32 v58, v107, v105
	v_add_f16_e32 v81, v73, v74
	v_add_f16_e32 v61, v55, v107
	v_fmac_f16_e32 v55, -0.5, v56
	v_sub_f16_e32 v56, v89, v106
	v_fmamk_f16 v66, v58, 0xbaee, v63
	v_fmac_f16_e32 v63, 0x3aee, v58
	v_add_f16_e32 v58, v61, v105
	v_add_f16_e32 v83, v62, v108
	v_fmamk_f16 v61, v56, 0x3aee, v55
	v_fmac_f16_e32 v55, 0xbaee, v56
	v_lshrrev_b32_e32 v56, 16, v62
	v_fmac_f16_e32 v62, -0.5, v67
	v_sub_f16_e32 v67, v73, v74
	v_add_f16_e32 v59, v59, v106
	v_add_f16_e32 v84, v57, v103
	;; [unrolled: 1-line block ×3, first 2 shown]
	v_fmac_f16_e32 v56, -0.5, v81
	v_sub_f16_e32 v81, v108, v72
	v_add_f16_e32 v72, v83, v72
	v_fmamk_f16 v83, v67, 0xbaee, v62
	v_fmac_f16_e32 v62, 0x3aee, v67
	v_add_f16_e32 v67, v73, v74
	v_fmamk_f16 v73, v81, 0x3aee, v56
	v_add_f16_e32 v74, v103, v110
	v_fmac_f16_e32 v56, 0xbaee, v81
	v_lshrrev_b32_e32 v81, 16, v57
	v_pack_b32_f16 v58, v59, v58
	v_pack_b32_f16 v59, v66, v61
	v_fmac_f16_e32 v57, -0.5, v74
	v_add_f16_e32 v84, v84, v110
	v_add_f16_e32 v74, v81, v109
	v_fmac_f16_e32 v81, -0.5, v85
	ds_store_2addr_b32 v39, v58, v59 offset1:90
	v_add_f16_e32 v58, v68, v70
	v_sub_f16_e32 v85, v109, v75
	v_add_f16_e32 v66, v74, v75
	v_fmamk_f16 v59, v60, 0x3aee, v81
	v_fmac_f16_e32 v81, 0xbaee, v60
	v_lshrrev_b32_e32 v60, 16, v54
	v_add_f16_e32 v74, v71, v69
	v_add_f16_e32 v75, v54, v68
	v_fmac_f16_e32 v54, -0.5, v58
	v_sub_f16_e32 v58, v71, v69
	v_add_f16_e32 v71, v60, v71
	v_fmac_f16_e32 v60, -0.5, v74
	v_sub_f16_e32 v68, v68, v70
	v_add_f16_e32 v70, v75, v70
	v_fmamk_f16 v74, v58, 0xbaee, v54
	v_fmac_f16_e32 v54, 0x3aee, v58
	v_add_f16_e32 v58, v71, v69
	v_fmamk_f16 v69, v68, 0x3aee, v60
	v_add_f16_e32 v71, v77, v78
	v_fmac_f16_e32 v60, 0xbaee, v68
	v_lshrrev_b32_e32 v68, 16, v43
	v_add_f16_e32 v75, v76, v79
	v_fmamk_f16 v61, v85, 0xbaee, v57
	v_pack_b32_f16 v55, v63, v55
	v_pack_b32_f16 v37, v72, v67
	;; [unrolled: 1-line block ×3, first 2 shown]
	v_fmac_f16_e32 v57, 0x3aee, v85
	v_add_f16_e32 v85, v43, v77
	v_fmac_f16_e32 v43, -0.5, v71
	v_sub_f16_e32 v71, v76, v79
	v_add_f16_e32 v76, v68, v76
	v_fmac_f16_e32 v68, -0.5, v75
	v_sub_f16_e32 v75, v77, v78
	v_pack_b32_f16 v56, v62, v56
	ds_store_b32 v39, v55 offset:720
	ds_store_2addr_b32 v20, v37, v63 offset1:90
	ds_store_b32 v20, v56 offset:720
	v_add3_u32 v20, 0, v21, v38
	v_pack_b32_f16 v21, v84, v66
	v_pack_b32_f16 v37, v61, v59
	v_add_f16_e32 v77, v85, v78
	v_fmamk_f16 v78, v71, 0xbaee, v43
	v_fmac_f16_e32 v43, 0x3aee, v71
	v_add_f16_e32 v71, v76, v79
	v_fmamk_f16 v76, v75, 0x3aee, v68
	v_pack_b32_f16 v38, v57, v81
	v_add_f16_e32 v79, v80, v102
	v_fmac_f16_e32 v68, 0xbaee, v75
	v_lshrrev_b32_e32 v75, 16, v82
	v_add_f16_e32 v85, v65, v64
	v_pack_b32_f16 v19, v70, v58
	v_pack_b32_f16 v39, v74, v69
	ds_store_2addr_b32 v20, v21, v37 offset1:90
	ds_store_b32 v20, v38 offset:720
	ds_store_2addr_b32 v18, v19, v39 offset1:90
	v_pack_b32_f16 v19, v54, v60
	v_add3_u32 v20, 0, v40, v42
	v_pack_b32_f16 v21, v77, v71
	v_pack_b32_f16 v38, v78, v76
	v_fmac_f16_e32 v82, -0.5, v79
	v_sub_f16_e32 v79, v65, v64
	v_add_f16_e32 v65, v75, v65
	v_fmac_f16_e32 v75, -0.5, v85
	v_sub_f16_e32 v80, v80, v102
	ds_store_b32 v18, v19 offset:720
	ds_store_2addr_b32 v20, v21, v38 offset1:90
	v_dual_mov_b32 v19, v15 :: v_dual_lshlrev_b32 v18, 1, v5
	v_add_f16_e32 v85, v86, v102
	v_fmamk_f16 v86, v79, 0xbaee, v82
	v_fmac_f16_e32 v82, 0x3aee, v79
	v_add_f16_e32 v64, v65, v64
	v_fmamk_f16 v65, v80, 0x3aee, v75
	v_fmac_f16_e32 v75, 0xbaee, v80
	v_lshl_add_u32 v37, v41, 2, 0
	v_lshlrev_b64 v[18:19], 2, v[18:19]
	v_pack_b32_f16 v39, v43, v68
	v_pack_b32_f16 v40, v85, v64
	;; [unrolled: 1-line block ×4, first 2 shown]
	v_add_nc_u32_e32 v42, 0x2000, v37
	v_add_co_u32 v18, s0, s4, v18
	ds_store_b32 v20, v39 offset:720
	ds_store_2addr_b32 v42, v40, v41 offset0:112 offset1:202
	ds_store_b32 v37, v21 offset:9360
	v_dual_mov_b32 v21, v15 :: v_dual_lshlrev_b32 v20, 1, v13
	v_add_co_ci_u32_e64 v19, s0, s5, v19, s0
	v_subrev_nc_u32_e32 v37, 27, v0
	v_cmp_gt_u32_e64 s0, 27, v0
	s_waitcnt lgkmcnt(0)
	s_barrier
	buffer_gl0_inv
	global_load_b64 v[55:56], v[16:17], off offset:1040
	v_lshlrev_b64 v[20:21], 2, v[20:21]
	v_cndmask_b32_e64 v37, v37, v12, s0
	v_mov_b32_e32 v39, v15
	global_load_b64 v[57:58], v[18:19], off offset:1040
	v_dual_mov_b32 v41, v15 :: v_dual_add_nc_u32 v40, 0x6c, v14
	v_add_co_u32 v20, s0, s4, v20
	v_lshlrev_b32_e32 v38, 1, v37
	v_add_co_ci_u32_e64 v21, s0, s5, v21, s0
	v_add_nc_u32_e32 v14, 0x10e, v14
	v_lshlrev_b32_e32 v37, 2, v37
	s_delay_alu instid0(VALU_DEP_4) | instskip(SKIP_2) | instid1(VALU_DEP_1)
	v_lshlrev_b64 v[38:39], 2, v[38:39]
	global_load_b64 v[59:60], v[20:21], off offset:1040
	v_add_co_u32 v38, s0, s4, v38
	v_add_co_ci_u32_e64 v39, s0, s5, v39, s0
	global_load_b64 v[61:62], v[38:39], off offset:1040
	v_lshlrev_b64 v[38:39], 2, v[40:41]
	s_delay_alu instid0(VALU_DEP_1) | instskip(NEXT) | instid1(VALU_DEP_1)
	v_add_co_u32 v38, s0, s4, v38
	v_add_co_ci_u32_e64 v39, s0, s5, v39, s0
	global_load_b64 v[63:64], v[38:39], off offset:1040
	v_lshlrev_b64 v[38:39], 2, v[14:15]
	v_mul_lo_u16 v14, 0x10e, v33
	v_mul_u32_u24_e32 v33, 0xca8, v33
	s_delay_alu instid0(VALU_DEP_3) | instskip(NEXT) | instid1(VALU_DEP_1)
	v_add_co_u32 v38, s0, s4, v38
	v_add_co_ci_u32_e64 v39, s0, s5, v39, s0
	s_delay_alu instid0(VALU_DEP_4) | instskip(SKIP_3) | instid1(VALU_DEP_1)
	v_sub_nc_u16 v14, v9, v14
	v_cmp_lt_u32_e64 s0, 26, v0
	global_load_b64 v[65:66], v[38:39], off offset:1040
	v_and_b32_e32 v14, 0xffff, v14
	v_lshlrev_b32_e32 v38, 3, v14
	v_lshlrev_b32_e32 v14, 2, v14
	global_load_b64 v[67:68], v38, s[4:5] offset:1040
	v_lshlrev_b32_e32 v38, 3, v34
	v_add3_u32 v14, 0, v33, v14
	global_load_b64 v[69:70], v38, s[4:5] offset:1040
	v_lshlrev_b32_e32 v38, 3, v35
	v_lshl_add_u32 v35, v35, 2, 0
	global_load_b64 v[71:72], v38, s[4:5] offset:1040
	v_lshlrev_b32_e32 v38, 3, v36
	v_lshl_add_u32 v36, v36, 2, 0
	global_load_b64 v[73:74], v38, s[4:5] offset:1040
	ds_load_2addr_b32 v[75:76], v48 offset0:84 offset1:165
	ds_load_2addr_b32 v[77:78], v49 offset0:42 offset1:123
	ds_load_u16 v84, v44 offset:3566
	ds_load_b32 v54, v29
	ds_load_b32 v42, v28
	;; [unrolled: 1-line block ×6, first 2 shown]
	ds_load_2addr_b32 v[79:80], v53 offset0:76 offset1:157
	s_waitcnt lgkmcnt(9)
	v_lshrrev_b32_e32 v87, 16, v75
	s_waitcnt lgkmcnt(8)
	v_lshrrev_b32_e32 v85, 16, v77
	v_lshrrev_b32_e32 v43, 16, v76
	s_waitcnt vmcnt(9)
	v_lshrrev_b32_e32 v81, 16, v55
	v_lshrrev_b32_e32 v83, 16, v56
	s_waitcnt vmcnt(8)
	v_lshrrev_b32_e32 v89, 16, v57
	s_delay_alu instid0(VALU_DEP_3) | instskip(NEXT) | instid1(VALU_DEP_3)
	v_mul_f16_e32 v86, v81, v77
	v_mul_f16_e32 v88, v83, v75
	;; [unrolled: 1-line block ×3, first 2 shown]
	ds_load_2addr_b32 v[81:82], v50 offset0:118 offset1:199
	v_mul_f16_e32 v83, v83, v87
	v_fma_f16 v85, v55, v85, -v86
	v_lshrrev_b32_e32 v86, 16, v58
	v_fma_f16 v87, v56, v87, -v88
	s_waitcnt lgkmcnt(8)
	v_mul_f16_e32 v91, v84, v89
	v_fmac_f16_e32 v90, v55, v77
	v_fmac_f16_e32 v83, v56, v75
	v_mul_f16_e32 v77, v43, v86
	v_mul_f16_e32 v55, v89, v78
	;; [unrolled: 1-line block ×3, first 2 shown]
	s_waitcnt vmcnt(7)
	v_lshrrev_b32_e32 v75, 16, v59
	v_fmac_f16_e32 v91, v57, v78
	v_fmac_f16_e32 v77, v76, v58
	v_fma_f16 v76, v84, v57, -v55
	s_waitcnt lgkmcnt(1)
	v_lshrrev_b32_e32 v57, 16, v79
	v_fma_f16 v78, v43, v58, -v56
	v_mul_f16_e32 v58, v79, v75
	v_lshrrev_b32_e32 v43, 16, v60
	ds_load_2addr_b32 v[55:56], v47 offset0:110 offset1:191
	v_mul_f16_e32 v75, v57, v75
	s_waitcnt lgkmcnt(1)
	v_lshrrev_b32_e32 v84, 16, v81
	v_fma_f16 v93, v57, v59, -v58
	ds_load_2addr_b32 v[57:58], v52 offset0:152 offset1:233
	v_mul_f16_e32 v86, v81, v43
	v_lshrrev_b32_e32 v89, 16, v80
	s_waitcnt vmcnt(6)
	v_lshrrev_b32_e32 v92, 16, v61
	v_mul_f16_e32 v94, v84, v43
	v_lshrrev_b32_e32 v43, 16, v82
	v_fma_f16 v84, v84, v60, -v86
	v_lshrrev_b32_e32 v95, 16, v62
	v_mul_f16_e32 v86, v89, v92
	v_fmac_f16_e32 v75, v79, v59
	v_fmac_f16_e32 v94, v81, v60
	v_mul_f16_e32 v59, v80, v92
	v_mul_f16_e32 v79, v43, v95
	v_fmac_f16_e32 v86, v80, v61
	v_mul_f16_e32 v60, v82, v95
	s_waitcnt vmcnt(5)
	v_lshrrev_b32_e32 v80, 16, v63
	v_fma_f16 v81, v89, v61, -v59
	s_waitcnt lgkmcnt(1)
	v_lshrrev_b32_e32 v61, 16, v55
	v_fmac_f16_e32 v79, v82, v62
	v_fma_f16 v82, v43, v62, -v60
	v_mul_f16_e32 v43, v55, v80
	v_lshrrev_b32_e32 v62, 16, v64
	ds_load_2addr_b32 v[59:60], v46 offset0:16 offset1:97
	s_waitcnt lgkmcnt(1)
	v_lshrrev_b32_e32 v89, 16, v57
	v_mul_f16_e32 v80, v61, v80
	v_fma_f16 v92, v61, v63, -v43
	v_mul_f16_e32 v43, v57, v62
	v_lshrrev_b32_e32 v95, 16, v56
	v_mul_f16_e32 v97, v89, v62
	ds_load_2addr_b32 v[61:62], v45 offset0:58 offset1:139
	s_waitcnt vmcnt(4)
	v_lshrrev_b32_e32 v96, 16, v65
	v_lshrrev_b32_e32 v98, 16, v58
	;; [unrolled: 1-line block ×3, first 2 shown]
	v_fma_f16 v89, v89, v64, -v43
	v_fmac_f16_e32 v80, v55, v63
	v_mul_f16_e32 v100, v95, v96
	v_fmac_f16_e32 v97, v57, v64
	v_mul_f16_e32 v63, v98, v99
	v_mul_f16_e32 v43, v56, v96
	;; [unrolled: 1-line block ×3, first 2 shown]
	v_fmac_f16_e32 v100, v56, v65
	s_waitcnt vmcnt(3)
	v_lshrrev_b32_e32 v56, 16, v67
	s_waitcnt lgkmcnt(1)
	v_lshrrev_b32_e32 v57, 16, v59
	v_fmac_f16_e32 v63, v58, v66
	v_fma_f16 v64, v95, v65, -v43
	v_fma_f16 v65, v98, v66, -v55
	v_mul_f16_e32 v43, v59, v56
	v_lshrrev_b32_e32 v58, 16, v68
	v_mul_f16_e32 v66, v57, v56
	ds_load_2addr_b32 v[55:56], v51 offset0:50 offset1:131
	s_waitcnt lgkmcnt(1)
	v_lshrrev_b32_e32 v95, 16, v61
	v_fma_f16 v96, v57, v67, -v43
	v_mul_f16_e32 v43, v61, v58
	v_lshrrev_b32_e32 v98, 16, v60
	s_waitcnt vmcnt(2)
	v_lshrrev_b32_e32 v99, 16, v69
	v_mul_f16_e32 v101, v95, v58
	ds_load_2addr_b32 v[57:58], v6 offset0:92 offset1:173
	v_lshrrev_b32_e32 v102, 16, v62
	v_lshrrev_b32_e32 v103, 16, v70
	v_mul_f16_e32 v104, v98, v99
	v_fmac_f16_e32 v66, v59, v67
	ds_load_b32 v88, v44
	v_fma_f16 v95, v95, v68, -v43
	v_mul_f16_e32 v59, v102, v103
	v_fmac_f16_e32 v101, v61, v68
	v_fmac_f16_e32 v104, v60, v69
	s_waitcnt vmcnt(1)
	v_lshrrev_b32_e32 v43, 16, v71
	v_mul_f16_e32 v60, v60, v99
	v_mul_f16_e32 v61, v62, v103
	v_fmac_f16_e32 v59, v62, v70
	s_waitcnt lgkmcnt(2)
	v_lshrrev_b32_e32 v62, 16, v55
	v_mul_f16_e32 v67, v55, v43
	v_fma_f16 v60, v98, v69, -v60
	v_lshrrev_b32_e32 v68, 16, v72
	v_fma_f16 v61, v102, v70, -v61
	v_mul_f16_e32 v69, v62, v43
	v_lshrrev_b32_e32 v70, 16, v56
	s_waitcnt vmcnt(0)
	v_lshrrev_b32_e32 v98, 16, v73
	s_waitcnt lgkmcnt(1)
	v_lshrrev_b32_e32 v99, 16, v58
	v_lshrrev_b32_e32 v102, 16, v74
	v_fma_f16 v62, v62, v71, -v67
	v_lshrrev_b32_e32 v43, 16, v57
	v_mul_f16_e32 v67, v57, v68
	v_mul_f16_e32 v103, v70, v98
	v_fmac_f16_e32 v69, v55, v71
	v_mul_f16_e32 v55, v99, v102
	v_mul_f16_e32 v68, v43, v68
	v_fma_f16 v67, v43, v72, -v67
	v_mul_f16_e32 v43, v56, v98
	v_fmac_f16_e32 v103, v56, v73
	v_mul_f16_e32 v56, v58, v102
	v_fmac_f16_e32 v55, v58, v74
	ds_load_b32 v58, v32
	v_fmac_f16_e32 v68, v57, v72
	v_fma_f16 v57, v70, v73, -v43
	s_waitcnt lgkmcnt(1)
	v_lshrrev_b32_e32 v70, 16, v88
	v_add_f16_e32 v71, v85, v87
	v_add_f16_e32 v72, v88, v90
	;; [unrolled: 1-line block ×3, first 2 shown]
	v_fma_f16 v56, v99, v74, -v56
	v_add_f16_e32 v73, v70, v85
	v_fmac_f16_e32 v70, -0.5, v71
	v_add_f16_e32 v71, v72, v83
	v_sub_f16_e32 v72, v90, v83
	ds_load_b32 v83, v31
	v_fmac_f16_e32 v88, -0.5, v43
	v_sub_f16_e32 v43, v85, v87
	v_add_f16_e32 v73, v73, v87
	v_fmamk_f16 v85, v72, 0x3aee, v70
	v_fmac_f16_e32 v70, 0xbaee, v72
	v_add_f16_e32 v72, v91, v77
	v_add_f16_e32 v90, v76, v78
	s_waitcnt lgkmcnt(1)
	v_lshrrev_b32_e32 v87, 16, v58
	v_add_f16_e32 v98, v58, v91
	v_fmamk_f16 v74, v43, 0xbaee, v88
	v_fmac_f16_e32 v58, -0.5, v72
	v_sub_f16_e32 v72, v76, v78
	v_add_f16_e32 v76, v87, v76
	v_fmac_f16_e32 v87, -0.5, v90
	v_sub_f16_e32 v90, v91, v77
	v_fmac_f16_e32 v88, 0x3aee, v43
	ds_load_b32 v43, v30
	v_add_f16_e32 v77, v98, v77
	v_fmamk_f16 v91, v72, 0xbaee, v58
	v_fmac_f16_e32 v58, 0x3aee, v72
	v_add_f16_e32 v72, v76, v78
	v_fmamk_f16 v76, v90, 0x3aee, v87
	v_add_f16_e32 v78, v75, v94
	v_fmac_f16_e32 v87, 0xbaee, v90
	s_waitcnt lgkmcnt(1)
	v_lshrrev_b32_e32 v90, 16, v83
	v_add_f16_e32 v98, v93, v84
	v_add_f16_e32 v99, v83, v75
	v_fmac_f16_e32 v83, -0.5, v78
	v_sub_f16_e32 v78, v93, v84
	v_add_f16_e32 v93, v90, v93
	v_fmac_f16_e32 v90, -0.5, v98
	v_sub_f16_e32 v75, v75, v94
	v_add_f16_e32 v94, v99, v94
	v_fmamk_f16 v98, v78, 0xbaee, v83
	v_fmac_f16_e32 v83, 0x3aee, v78
	v_add_f16_e32 v78, v93, v84
	v_fmamk_f16 v84, v75, 0x3aee, v90
	v_add_f16_e32 v93, v86, v79
	v_fmac_f16_e32 v90, 0xbaee, v75
	v_lshrrev_b32_e32 v75, 16, v54
	v_add_f16_e32 v99, v81, v82
	v_add_f16_e32 v102, v54, v86
	v_fmac_f16_e32 v54, -0.5, v93
	v_sub_f16_e32 v93, v81, v82
	v_add_f16_e32 v81, v75, v81
	v_fmac_f16_e32 v75, -0.5, v99
	v_sub_f16_e32 v86, v86, v79
	v_add_f16_e32 v79, v102, v79
	v_fmamk_f16 v99, v93, 0xbaee, v54
	v_fmac_f16_e32 v54, 0x3aee, v93
	v_add_f16_e32 v81, v81, v82
	v_fmamk_f16 v82, v86, 0x3aee, v75
	v_add_f16_e32 v93, v80, v97
	v_fmac_f16_e32 v75, 0xbaee, v86
	;; [unrolled: 15-line block ×3, first 2 shown]
	v_lshrrev_b32_e32 v80, 16, v41
	v_add_f16_e32 v105, v64, v65
	v_add_f16_e32 v106, v41, v100
	v_fmac_f16_e32 v41, -0.5, v93
	v_sub_f16_e32 v93, v64, v65
	v_add_f16_e32 v64, v80, v64
	v_fmac_f16_e32 v80, -0.5, v105
	v_add_f16_e32 v105, v106, v63
	v_sub_f16_e32 v63, v100, v63
	v_fmamk_f16 v100, v93, 0xbaee, v41
	v_add_f16_e32 v64, v64, v65
	v_add_f16_e32 v65, v66, v101
	v_fmac_f16_e32 v41, 0x3aee, v93
	v_fmamk_f16 v93, v63, 0x3aee, v80
	v_fmac_f16_e32 v80, 0xbaee, v63
	v_lshrrev_b32_e32 v63, 16, v40
	v_add_f16_e32 v106, v40, v66
	v_fmac_f16_e32 v40, -0.5, v65
	v_add_f16_e32 v65, v96, v95
	v_sub_f16_e32 v66, v66, v101
	v_add_f16_e32 v107, v63, v96
	v_pack_b32_f16 v71, v71, v73
	v_pack_b32_f16 v73, v74, v85
	v_fmac_f16_e32 v63, -0.5, v65
	v_sub_f16_e32 v65, v96, v95
	v_add_f16_e32 v96, v106, v101
	v_pack_b32_f16 v70, v88, v70
	v_pack_b32_f16 v72, v77, v72
	v_fmamk_f16 v106, v66, 0x3aee, v63
	v_fmamk_f16 v101, v65, 0xbaee, v40
	v_fmac_f16_e32 v40, 0x3aee, v65
	v_add_f16_e32 v65, v107, v95
	v_add_f16_e32 v95, v104, v59
	v_fmac_f16_e32 v63, 0xbaee, v66
	v_lshrrev_b32_e32 v66, 16, v39
	v_add_f16_e32 v107, v39, v104
	v_pack_b32_f16 v74, v91, v76
	v_fmac_f16_e32 v39, -0.5, v95
	v_sub_f16_e32 v95, v60, v61
	v_pack_b32_f16 v58, v58, v87
	s_waitcnt lgkmcnt(0)
	s_barrier
	buffer_gl0_inv
	ds_store_b32 v44, v71
	ds_store_b32 v44, v73 offset:1080
	ds_store_b32 v44, v70 offset:2160
	v_cndmask_b32_e64 v70, 0, 0xca8, s0
	v_fmamk_f16 v108, v95, 0xbaee, v39
	v_fmac_f16_e32 v39, 0x3aee, v95
	v_add_f16_e32 v95, v66, v60
	v_add_f16_e32 v60, v60, v61
	ds_store_b32 v32, v72
	ds_store_b32 v32, v74 offset:1080
	ds_store_b32 v32, v58 offset:2160
	v_pack_b32_f16 v58, v94, v78
	v_pack_b32_f16 v71, v98, v84
	;; [unrolled: 1-line block ×3, first 2 shown]
	v_add3_u32 v37, 0, v70, v37
	v_pack_b32_f16 v70, v79, v81
	v_pack_b32_f16 v73, v99, v82
	v_fmac_f16_e32 v66, -0.5, v60
	v_add_f16_e32 v60, v107, v59
	v_sub_f16_e32 v59, v104, v59
	v_pack_b32_f16 v54, v54, v75
	ds_store_b32 v31, v58
	ds_store_b32 v31, v71 offset:1080
	ds_store_b32 v31, v72 offset:2160
	ds_store_b32 v37, v70
	ds_store_b32 v37, v73 offset:1080
	ds_store_b32 v37, v54 offset:2160
	v_add_f16_e32 v37, v69, v68
	v_lshrrev_b32_e32 v58, 16, v38
	v_fmamk_f16 v54, v59, 0x3aee, v66
	v_fmac_f16_e32 v66, 0xbaee, v59
	v_add_f16_e32 v59, v62, v67
	v_add_f16_e32 v70, v38, v69
	v_fmac_f16_e32 v38, -0.5, v37
	v_sub_f16_e32 v37, v62, v67
	v_add_f16_e32 v62, v58, v62
	v_fmac_f16_e32 v58, -0.5, v59
	v_sub_f16_e32 v59, v69, v68
	v_add_f16_e32 v68, v70, v68
	v_fmamk_f16 v69, v37, 0xbaee, v38
	v_fmac_f16_e32 v38, 0x3aee, v37
	v_add_f16_e32 v37, v62, v67
	v_add_f16_e32 v67, v103, v55
	v_fmamk_f16 v62, v59, 0x3aee, v58
	v_fmac_f16_e32 v58, 0xbaee, v59
	v_lshrrev_b32_e32 v59, 16, v43
	v_add_f16_e32 v70, v57, v56
	v_add_f16_e32 v71, v43, v103
	v_fmac_f16_e32 v43, -0.5, v67
	v_sub_f16_e32 v67, v57, v56
	v_add_f16_e32 v57, v59, v57
	v_fmac_f16_e32 v59, -0.5, v70
	v_sub_f16_e32 v70, v103, v55
	v_add_f16_e32 v55, v71, v55
	v_fmamk_f16 v71, v67, 0xbaee, v43
	v_fmac_f16_e32 v43, 0x3aee, v67
	v_pack_b32_f16 v67, v97, v89
	v_pack_b32_f16 v64, v105, v64
	v_add_f16_e32 v61, v95, v61
	v_add_f16_e32 v56, v57, v56
	v_fmamk_f16 v57, v70, 0x3aee, v59
	v_fmac_f16_e32 v59, 0xbaee, v70
	v_pack_b32_f16 v70, v102, v92
	ds_store_2addr_b32 v49, v67, v64 offset0:96 offset1:177
	v_pack_b32_f16 v64, v100, v93
	v_pack_b32_f16 v42, v42, v86
	;; [unrolled: 1-line block ×6, first 2 shown]
	ds_store_2addr_b32 v47, v70, v64 offset0:110 offset1:191
	ds_store_2addr_b32 v46, v42, v41 offset0:124 offset1:205
	ds_store_b32 v14, v33
	ds_store_b32 v14, v65 offset:1080
	ds_store_b32 v14, v40 offset:2160
	v_lshl_add_u32 v14, v34, 2, 0
	v_pack_b32_f16 v33, v60, v61
	v_pack_b32_f16 v34, v108, v54
	;; [unrolled: 1-line block ×9, first 2 shown]
	ds_store_b32 v14, v33 offset:6480
	ds_store_b32 v14, v34 offset:7560
	;; [unrolled: 1-line block ×9, first 2 shown]
	v_lshlrev_b32_e32 v14, 1, v12
	s_waitcnt lgkmcnt(0)
	s_barrier
	buffer_gl0_inv
	s_clause 0x1
	global_load_b64 v[33:34], v[16:17], off offset:3200
	global_load_b64 v[35:36], v[18:19], off offset:3200
	v_lshlrev_b64 v[16:17], 2, v[14:15]
	v_lshlrev_b32_e32 v14, 1, v11
	global_load_b64 v[37:38], v[20:21], off offset:3200
	v_add_co_u32 v16, s0, s4, v16
	s_delay_alu instid0(VALU_DEP_1) | instskip(SKIP_3) | instid1(VALU_DEP_2)
	v_add_co_ci_u32_e64 v17, s0, s5, v17, s0
	global_load_b64 v[39:40], v[16:17], off offset:3200
	v_lshlrev_b64 v[16:17], 2, v[14:15]
	v_lshlrev_b32_e32 v14, 1, v10
	v_add_co_u32 v16, s0, s4, v16
	s_delay_alu instid0(VALU_DEP_2) | instskip(NEXT) | instid1(VALU_DEP_4)
	v_lshlrev_b64 v[18:19], 2, v[14:15]
	v_add_co_ci_u32_e64 v17, s0, s5, v17, s0
	v_lshlrev_b32_e32 v14, 1, v9
	global_load_b64 v[41:42], v[16:17], off offset:3200
	v_add_co_u32 v16, s0, s4, v18
	s_delay_alu instid0(VALU_DEP_1) | instskip(SKIP_3) | instid1(VALU_DEP_2)
	v_add_co_ci_u32_e64 v17, s0, s5, v19, s0
	global_load_b64 v[54:55], v[16:17], off offset:3200
	v_lshlrev_b64 v[16:17], 2, v[14:15]
	v_lshlrev_b32_e32 v14, 1, v8
	v_add_co_u32 v16, s0, s4, v16
	s_delay_alu instid0(VALU_DEP_2) | instskip(NEXT) | instid1(VALU_DEP_4)
	v_lshlrev_b64 v[18:19], 2, v[14:15]
	v_add_co_ci_u32_e64 v17, s0, s5, v17, s0
	v_lshlrev_b32_e32 v14, 1, v7
	global_load_b64 v[56:57], v[16:17], off offset:3200
	v_add_co_u32 v16, s0, s4, v18
	s_delay_alu instid0(VALU_DEP_1) | instskip(SKIP_3) | instid1(VALU_DEP_2)
	v_add_co_ci_u32_e64 v17, s0, s5, v19, s0
	global_load_b64 v[58:59], v[16:17], off offset:3200
	v_lshlrev_b64 v[16:17], 2, v[14:15]
	v_lshlrev_b32_e32 v14, 1, v4
	v_add_co_u32 v16, s0, s4, v16
	s_delay_alu instid0(VALU_DEP_1) | instskip(NEXT) | instid1(VALU_DEP_3)
	v_add_co_ci_u32_e64 v17, s0, s5, v17, s0
	v_lshlrev_b64 v[18:19], 2, v[14:15]
	global_load_b64 v[60:61], v[16:17], off offset:3200
	v_add_co_u32 v16, s0, s4, v18
	s_delay_alu instid0(VALU_DEP_1)
	v_add_co_ci_u32_e64 v17, s0, s5, v19, s0
	global_load_b64 v[62:63], v[16:17], off offset:3200
	ds_load_2addr_b32 v[64:65], v48 offset0:84 offset1:165
	ds_load_2addr_b32 v[66:67], v53 offset0:76 offset1:157
	;; [unrolled: 1-line block ×6, first 2 shown]
	ds_load_b32 v21, v44
	ds_load_u16 v47, v44 offset:3566
	ds_load_b32 v20, v29
	ds_load_b32 v19, v28
	;; [unrolled: 1-line block ×6, first 2 shown]
	s_waitcnt lgkmcnt(13)
	v_lshrrev_b32_e32 v78, 16, v64
	v_lshrrev_b32_e32 v43, 16, v65
	s_waitcnt lgkmcnt(12)
	v_lshrrev_b32_e32 v50, 16, v66
	s_waitcnt lgkmcnt(10)
	v_lshrrev_b32_e32 v77, 16, v48
	v_lshrrev_b32_e32 v72, 16, v68
	;; [unrolled: 1-line block ×4, first 2 shown]
	s_waitcnt vmcnt(9)
	v_lshrrev_b32_e32 v75, 16, v33
	v_lshrrev_b32_e32 v76, 16, v34
	s_waitcnt vmcnt(8)
	v_lshrrev_b32_e32 v81, 16, v35
	s_delay_alu instid0(VALU_DEP_3) | instskip(SKIP_3) | instid1(VALU_DEP_4)
	v_mul_f16_e32 v79, v75, v77
	v_mul_f16_e32 v75, v75, v48
	;; [unrolled: 1-line block ×4, first 2 shown]
	v_fmac_f16_e32 v79, v33, v48
	s_delay_alu instid0(VALU_DEP_4) | instskip(NEXT) | instid1(VALU_DEP_4)
	v_fma_f16 v48, v33, v77, -v75
	v_fmac_f16_e32 v80, v34, v64
	s_delay_alu instid0(VALU_DEP_4)
	v_fma_f16 v64, v34, v78, -v76
	s_waitcnt lgkmcnt(6)
	v_mul_f16_e32 v75, v47, v81
	v_lshrrev_b32_e32 v76, 16, v36
	v_mul_f16_e32 v78, v81, v49
	ds_load_2addr_b32 v[33:34], v46 offset0:16 offset1:97
	ds_load_2addr_b32 v[45:46], v45 offset0:58 offset1:139
	v_fmac_f16_e32 v75, v35, v49
	v_mul_f16_e32 v49, v43, v76
	v_fma_f16 v47, v47, v35, -v78
	v_mul_f16_e32 v35, v65, v76
	s_waitcnt vmcnt(7)
	v_lshrrev_b32_e32 v76, 16, v37
	v_lshrrev_b32_e32 v77, 16, v70
	v_fmac_f16_e32 v49, v65, v36
	v_lshrrev_b32_e32 v65, 16, v38
	v_fma_f16 v43, v43, v36, -v35
	v_mul_f16_e32 v78, v50, v76
	v_mul_f16_e32 v35, v66, v76
	v_lshrrev_b32_e32 v81, 16, v52
	v_mul_f16_e32 v76, v72, v65
	v_mul_f16_e32 v36, v68, v65
	s_waitcnt vmcnt(6)
	v_lshrrev_b32_e32 v65, 16, v39
	v_fmac_f16_e32 v78, v66, v37
	v_fma_f16 v50, v50, v37, -v35
	v_fmac_f16_e32 v76, v68, v38
	v_fma_f16 v66, v72, v38, -v36
	v_mul_f16_e32 v68, v73, v65
	v_lshrrev_b32_e32 v35, 16, v40
	v_mul_f16_e32 v36, v67, v65
	s_waitcnt vmcnt(5)
	v_lshrrev_b32_e32 v37, 16, v42
	v_lshrrev_b32_e32 v65, 16, v71
	v_fmac_f16_e32 v68, v67, v39
	v_mul_f16_e32 v67, v74, v35
	v_fma_f16 v39, v73, v39, -v36
	v_mul_f16_e32 v35, v69, v35
	v_lshrrev_b32_e32 v36, 16, v41
	v_lshrrev_b32_e32 v72, 16, v53
	v_fmac_f16_e32 v67, v69, v40
	s_waitcnt vmcnt(4)
	v_lshrrev_b32_e32 v38, 16, v54
	v_fma_f16 v40, v74, v40, -v35
	v_mul_f16_e32 v35, v70, v36
	v_mul_f16_e32 v74, v77, v36
	;; [unrolled: 1-line block ×4, first 2 shown]
	v_lshrrev_b32_e32 v37, 16, v55
	v_fma_f16 v77, v77, v41, -v35
	v_mul_f16_e32 v83, v65, v38
	v_fma_f16 v81, v81, v42, -v36
	v_fmac_f16_e32 v74, v70, v41
	v_fmac_f16_e32 v82, v52, v42
	v_mul_f16_e32 v41, v72, v37
	v_mul_f16_e32 v52, v71, v38
	ds_load_2addr_b32 v[35:36], v51 offset0:50 offset1:131
	v_mul_f16_e32 v51, v53, v37
	ds_load_2addr_b32 v[37:38], v6 offset0:92 offset1:173
	s_waitcnt vmcnt(3)
	v_lshrrev_b32_e32 v6, 16, v57
	s_waitcnt lgkmcnt(2)
	v_lshrrev_b32_e32 v69, 16, v45
	v_fma_f16 v52, v65, v54, -v52
	v_lshrrev_b32_e32 v42, 16, v34
	v_fmac_f16_e32 v41, v53, v55
	v_mul_f16_e32 v65, v45, v6
	v_fma_f16 v51, v72, v55, -v51
	v_lshrrev_b32_e32 v55, 16, v46
	s_waitcnt vmcnt(2)
	v_lshrrev_b32_e32 v70, 16, v58
	v_mul_f16_e32 v6, v69, v6
	v_fma_f16 v65, v69, v57, -v65
	v_lshrrev_b32_e32 v69, 16, v59
	v_lshrrev_b32_e32 v73, 16, v33
	v_fmac_f16_e32 v83, v71, v54
	v_lshrrev_b32_e32 v53, 16, v56
	v_mul_f16_e32 v71, v42, v70
	v_fmac_f16_e32 v6, v45, v57
	v_mul_f16_e32 v45, v55, v69
	s_waitcnt lgkmcnt(1)
	v_lshrrev_b32_e32 v57, 16, v36
	v_mul_f16_e32 v54, v33, v53
	v_mul_f16_e32 v53, v73, v53
	v_fmac_f16_e32 v71, v34, v58
	v_mul_f16_e32 v34, v34, v70
	v_fmac_f16_e32 v45, v46, v59
	v_mul_f16_e32 v46, v46, v69
	s_waitcnt vmcnt(1)
	v_lshrrev_b32_e32 v69, 16, v60
	v_fma_f16 v54, v73, v56, -v54
	v_fmac_f16_e32 v53, v33, v56
	v_lshrrev_b32_e32 v33, 16, v35
	s_waitcnt lgkmcnt(0)
	v_lshrrev_b32_e32 v56, 16, v37
	v_fma_f16 v34, v42, v58, -v34
	v_lshrrev_b32_e32 v42, 16, v61
	v_fma_f16 v46, v55, v59, -v46
	v_mul_f16_e32 v55, v35, v69
	v_lshrrev_b32_e32 v70, 16, v38
	v_mul_f16_e32 v59, v33, v69
	s_waitcnt vmcnt(0)
	v_lshrrev_b32_e32 v69, 16, v62
	v_mul_f16_e32 v73, v56, v42
	v_fma_f16 v33, v33, v60, -v55
	v_lshrrev_b32_e32 v55, 16, v63
	ds_load_b32 v58, v31
	ds_load_b32 v72, v32
	v_mul_f16_e32 v42, v37, v42
	v_mul_f16_e32 v84, v57, v69
	v_fmac_f16_e32 v73, v37, v61
	v_mul_f16_e32 v37, v70, v55
	v_fmac_f16_e32 v59, v35, v60
	v_fma_f16 v35, v56, v61, -v42
	v_fmac_f16_e32 v84, v36, v62
	v_mul_f16_e32 v36, v36, v69
	v_fmac_f16_e32 v37, v38, v63
	v_mul_f16_e32 v38, v38, v55
	v_lshrrev_b32_e32 v42, 16, v21
	v_add_f16_e32 v61, v21, v79
	v_fma_f16 v36, v57, v62, -v36
	v_add_f16_e32 v57, v79, v80
	v_fma_f16 v38, v70, v63, -v38
	v_add_f16_e32 v63, v48, v64
	v_lshrrev_b32_e32 v62, 16, v20
	v_add_f16_e32 v61, v61, v80
	v_fmac_f16_e32 v21, -0.5, v57
	v_sub_f16_e32 v57, v48, v64
	v_add_f16_e32 v48, v42, v48
	v_fmac_f16_e32 v42, -0.5, v63
	v_sub_f16_e32 v63, v79, v80
	s_waitcnt lgkmcnt(0)
	v_lshrrev_b32_e32 v55, 16, v72
	v_fmamk_f16 v69, v57, 0xbaee, v21
	v_fmac_f16_e32 v21, 0x3aee, v57
	v_add_f16_e32 v48, v48, v64
	v_add_f16_e32 v57, v75, v49
	v_fmamk_f16 v64, v63, 0x3aee, v42
	v_add_f16_e32 v70, v72, v75
	v_fmac_f16_e32 v42, 0xbaee, v63
	v_add_f16_e32 v63, v47, v43
	v_fmac_f16_e32 v72, -0.5, v57
	v_sub_f16_e32 v57, v47, v43
	v_add_f16_e32 v70, v70, v49
	v_add_f16_e32 v47, v55, v47
	v_fmac_f16_e32 v55, -0.5, v63
	v_sub_f16_e32 v49, v75, v49
	v_lshrrev_b32_e32 v60, 16, v58
	v_fmamk_f16 v63, v57, 0xbaee, v72
	v_fmac_f16_e32 v72, 0x3aee, v57
	v_add_f16_e32 v43, v47, v43
	v_add_f16_e32 v47, v78, v76
	v_fmamk_f16 v57, v49, 0x3aee, v55
	v_fmac_f16_e32 v55, 0xbaee, v49
	v_add_f16_e32 v49, v50, v66
	v_add_f16_e32 v75, v58, v78
	v_fmac_f16_e32 v58, -0.5, v47
	v_sub_f16_e32 v47, v50, v66
	v_add_f16_e32 v50, v60, v50
	v_fmac_f16_e32 v60, -0.5, v49
	v_sub_f16_e32 v49, v78, v76
	v_add_f16_e32 v75, v75, v76
	v_fmamk_f16 v76, v47, 0xbaee, v58
	v_fmac_f16_e32 v58, 0x3aee, v47
	v_add_f16_e32 v47, v50, v66
	v_add_f16_e32 v50, v68, v67
	v_fmamk_f16 v66, v49, 0x3aee, v60
	v_fmac_f16_e32 v60, 0xbaee, v49
	v_add_f16_e32 v49, v39, v40
	v_add_f16_e32 v78, v20, v68
	v_fmac_f16_e32 v20, -0.5, v50
	v_sub_f16_e32 v50, v39, v40
	v_add_f16_e32 v39, v62, v39
	v_fmac_f16_e32 v62, -0.5, v49
	v_add_f16_e32 v78, v78, v67
	v_sub_f16_e32 v67, v68, v67
	v_lshrrev_b32_e32 v49, 16, v19
	v_fmamk_f16 v68, v50, 0xbaee, v20
	v_fmac_f16_e32 v20, 0x3aee, v50
	v_add_f16_e32 v50, v74, v82
	v_add_f16_e32 v39, v39, v40
	v_fmamk_f16 v40, v67, 0x3aee, v62
	v_fmac_f16_e32 v62, 0xbaee, v67
	v_add_f16_e32 v67, v77, v81
	v_add_f16_e32 v79, v19, v74
	v_fmac_f16_e32 v19, -0.5, v50
	v_sub_f16_e32 v50, v77, v81
	v_add_f16_e32 v77, v49, v77
	v_fmac_f16_e32 v49, -0.5, v67
	v_sub_f16_e32 v74, v74, v82
	v_add_f16_e32 v67, v79, v82
	v_fmamk_f16 v79, v50, 0xbaee, v19
	v_fmac_f16_e32 v19, 0x3aee, v50
	v_add_f16_e32 v50, v77, v81
	v_add_f16_e32 v77, v83, v41
	v_fmamk_f16 v80, v74, 0x3aee, v49
	v_fmac_f16_e32 v49, 0xbaee, v74
	v_lshrrev_b32_e32 v74, 16, v18
	v_add_f16_e32 v81, v52, v51
	v_add_f16_e32 v82, v18, v83
	v_fmac_f16_e32 v18, -0.5, v77
	v_sub_f16_e32 v77, v52, v51
	v_add_f16_e32 v52, v74, v52
	v_fmac_f16_e32 v74, -0.5, v81
	v_sub_f16_e32 v81, v83, v41
	v_add_f16_e32 v41, v82, v41
	v_fmamk_f16 v82, v77, 0xbaee, v18
	v_fmac_f16_e32 v18, 0x3aee, v77
	v_add_f16_e32 v51, v52, v51
	v_fmamk_f16 v52, v81, 0x3aee, v74
	v_add_f16_e32 v77, v53, v6
	v_fmac_f16_e32 v74, 0xbaee, v81
	v_lshrrev_b32_e32 v81, 16, v17
	v_add_f16_e32 v83, v54, v65
	v_add_f16_e32 v85, v17, v53
	v_fmac_f16_e32 v17, -0.5, v77
	v_sub_f16_e32 v77, v54, v65
	v_add_f16_e32 v54, v81, v54
	v_fmac_f16_e32 v81, -0.5, v83
	v_sub_f16_e32 v53, v53, v6
	ds_load_b32 v56, v30
	v_add_f16_e32 v6, v85, v6
	v_fmamk_f16 v83, v77, 0xbaee, v17
	v_fmac_f16_e32 v17, 0x3aee, v77
	v_add_f16_e32 v54, v54, v65
	v_fmamk_f16 v65, v53, 0x3aee, v81
	v_add_f16_e32 v77, v71, v45
	v_fmac_f16_e32 v81, 0xbaee, v53
	v_lshrrev_b32_e32 v53, 16, v16
	v_add_f16_e32 v85, v34, v46
	v_add_f16_e32 v86, v16, v71
	v_fmac_f16_e32 v16, -0.5, v77
	v_sub_f16_e32 v77, v34, v46
	v_add_f16_e32 v34, v53, v34
	v_fmac_f16_e32 v53, -0.5, v85
	v_sub_f16_e32 v71, v71, v45
	v_add_f16_e32 v45, v86, v45
	v_fmamk_f16 v85, v77, 0xbaee, v16
	v_fmac_f16_e32 v16, 0x3aee, v77
	v_add_f16_e32 v34, v34, v46
	v_fmamk_f16 v46, v71, 0x3aee, v53
	v_add_f16_e32 v77, v59, v73
	v_fmac_f16_e32 v53, 0xbaee, v71
	v_lshrrev_b32_e32 v71, 16, v14
	v_add_f16_e32 v86, v33, v35
	v_pack_b32_f16 v48, v61, v48
	v_pack_b32_f16 v61, v69, v64
	v_add_f16_e32 v87, v14, v59
	v_fmac_f16_e32 v14, -0.5, v77
	v_sub_f16_e32 v77, v33, v35
	v_add_f16_e32 v33, v71, v33
	v_fmac_f16_e32 v71, -0.5, v86
	v_sub_f16_e32 v59, v59, v73
	v_pack_b32_f16 v21, v21, v42
	v_pack_b32_f16 v42, v70, v43
	;; [unrolled: 1-line block ×3, first 2 shown]
	s_waitcnt lgkmcnt(0)
	s_barrier
	buffer_gl0_inv
	v_pack_b32_f16 v55, v72, v55
	ds_store_b32 v44, v48
	ds_store_b32 v44, v61 offset:3240
	ds_store_b32 v44, v21 offset:6480
	ds_store_b32 v32, v42
	ds_store_b32 v32, v43 offset:3240
	ds_store_b32 v32, v55 offset:6480
	v_pack_b32_f16 v21, v75, v47
	v_pack_b32_f16 v32, v76, v66
	v_fmamk_f16 v86, v77, 0xbaee, v14
	v_fmac_f16_e32 v14, 0x3aee, v77
	v_add_f16_e32 v33, v33, v35
	v_fmamk_f16 v35, v59, 0x3aee, v71
	v_add_f16_e32 v77, v84, v37
	v_fmac_f16_e32 v71, 0xbaee, v59
	v_lshrrev_b32_e32 v59, 16, v56
	v_pack_b32_f16 v42, v58, v60
	v_add_f16_e32 v73, v87, v73
	v_add_f16_e32 v87, v36, v38
	v_pack_b32_f16 v39, v78, v39
	v_pack_b32_f16 v40, v68, v40
	;; [unrolled: 1-line block ×3, first 2 shown]
	ds_store_b32 v31, v21
	ds_store_b32 v31, v32 offset:3240
	ds_store_b32 v31, v42 offset:6480
	ds_store_b32 v29, v39
	ds_store_b32 v29, v40 offset:3240
	ds_store_b32 v29, v20 offset:6480
	v_pack_b32_f16 v20, v67, v50
	v_pack_b32_f16 v21, v79, v80
	v_add_f16_e32 v88, v56, v84
	v_fmac_f16_e32 v56, -0.5, v77
	v_sub_f16_e32 v77, v36, v38
	v_add_f16_e32 v36, v59, v36
	v_pack_b32_f16 v19, v19, v49
	v_fmac_f16_e32 v59, -0.5, v87
	v_sub_f16_e32 v84, v84, v37
	v_pack_b32_f16 v31, v41, v51
	v_pack_b32_f16 v32, v82, v52
	;; [unrolled: 1-line block ×4, first 2 shown]
	ds_store_b32 v28, v20
	ds_store_b32 v28, v21 offset:3240
	ds_store_b32 v28, v19 offset:6480
	ds_store_b32 v27, v31
	ds_store_b32 v27, v32 offset:3240
	ds_store_b32 v27, v18 offset:6480
	v_pack_b32_f16 v18, v83, v65
	v_pack_b32_f16 v17, v17, v81
	v_add_f16_e32 v37, v88, v37
	v_add_f16_e32 v36, v36, v38
	v_pack_b32_f16 v19, v45, v34
	v_fmamk_f16 v87, v77, 0xbaee, v56
	v_fmamk_f16 v38, v84, 0x3aee, v59
	v_pack_b32_f16 v20, v85, v46
	v_fmac_f16_e32 v56, 0x3aee, v77
	v_fmac_f16_e32 v59, 0xbaee, v84
	v_pack_b32_f16 v16, v16, v53
	ds_store_b32 v26, v6
	ds_store_b32 v26, v18 offset:3240
	ds_store_b32 v26, v17 offset:6480
	ds_store_b32 v25, v19
	ds_store_b32 v25, v20 offset:3240
	ds_store_b32 v25, v16 offset:6480
	v_pack_b32_f16 v6, v73, v33
	v_pack_b32_f16 v16, v86, v35
	;; [unrolled: 1-line block ×6, first 2 shown]
	ds_store_b32 v24, v6
	ds_store_b32 v24, v16 offset:3240
	ds_store_b32 v24, v14 offset:6480
	ds_store_b32 v30, v17
	ds_store_b32 v30, v18 offset:3240
	ds_store_b32 v30, v19 offset:6480
	s_waitcnt lgkmcnt(0)
	s_barrier
	buffer_gl0_inv
	ds_load_b32 v6, v44
	v_sub_nc_u32_e32 v18, 0, v1
                                        ; implicit-def: $vgpr21
                                        ; implicit-def: $vgpr20
                                        ; implicit-def: $vgpr19
                                        ; implicit-def: $vgpr16_vgpr17
	s_waitcnt lgkmcnt(0)
	v_lshrrev_b32_e32 v14, 16, v6
	v_cmpx_ne_u32_e32 0, v0
	s_xor_b32 s3, exec_lo, s3
	s_cbranch_execz .LBB0_15
; %bb.14:
	v_mov_b32_e32 v1, v15
	s_delay_alu instid0(VALU_DEP_1) | instskip(NEXT) | instid1(VALU_DEP_1)
	v_lshlrev_b64 v[15:16], 2, v[0:1]
	v_add_co_u32 v15, s0, s1, v15
	s_delay_alu instid0(VALU_DEP_1)
	v_add_co_ci_u32_e64 v16, s0, s2, v16, s0
	global_load_b32 v15, v[15:16], off
	ds_load_b32 v16, v18 offset:9720
	s_waitcnt lgkmcnt(0)
	v_lshrrev_b32_e32 v17, 16, v16
	v_sub_f16_e32 v19, v6, v16
	v_add_f16_e32 v6, v16, v6
	s_delay_alu instid0(VALU_DEP_3) | instskip(SKIP_1) | instid1(VALU_DEP_4)
	v_add_f16_e32 v20, v17, v14
	v_sub_f16_e32 v14, v14, v17
	v_mul_f16_e32 v17, 0.5, v19
	s_delay_alu instid0(VALU_DEP_3) | instskip(NEXT) | instid1(VALU_DEP_3)
	v_mul_f16_e32 v16, 0.5, v20
	v_mul_f16_e32 v14, 0.5, v14
	s_waitcnt vmcnt(0)
	v_lshrrev_b32_e32 v19, 16, v15
	s_delay_alu instid0(VALU_DEP_1) | instskip(NEXT) | instid1(VALU_DEP_3)
	v_mul_f16_e32 v20, v19, v17
	v_fma_f16 v21, v16, v19, v14
	v_fma_f16 v14, v16, v19, -v14
	s_delay_alu instid0(VALU_DEP_3) | instskip(SKIP_1) | instid1(VALU_DEP_4)
	v_fma_f16 v31, 0.5, v6, v20
	v_fma_f16 v6, v6, 0.5, -v20
	v_fma_f16 v19, -v15, v17, v21
	s_delay_alu instid0(VALU_DEP_4) | instskip(NEXT) | instid1(VALU_DEP_4)
	v_fma_f16 v21, -v15, v17, v14
                                        ; implicit-def: $vgpr14
	v_fmac_f16_e32 v31, v15, v16
	s_delay_alu instid0(VALU_DEP_4)
	v_fma_f16 v20, -v15, v16, v6
	v_dual_mov_b32 v17, v1 :: v_dual_mov_b32 v16, v0
                                        ; implicit-def: $vgpr6
	ds_store_b16 v44, v31
.LBB0_15:
	s_or_saveexec_b32 s0, s3
	v_mul_i32_i24_e32 v15, 0xffffffdc, v5
	v_mul_i32_i24_e32 v1, 0xffffffdc, v13
	s_xor_b32 exec_lo, exec_lo, s0
	s_cbranch_execz .LBB0_17
; %bb.16:
	v_mov_b32_e32 v19, 0
	v_add_f16_e32 v31, v14, v6
	v_sub_f16_e32 v20, v6, v14
	v_mov_b32_e32 v21, 0
	ds_load_u16 v16, v19 offset:4862
	s_waitcnt lgkmcnt(0)
	v_xor_b32_e32 v6, 0x8000, v16
	v_mov_b32_e32 v16, 0
	v_mov_b32_e32 v17, 0
	ds_store_b16 v44, v31
	ds_store_b16 v19, v6 offset:4862
.LBB0_17:
	s_or_b32 exec_lo, exec_lo, s0
	v_dual_mov_b32 v6, 0 :: v_dual_add_nc_u32 v15, v23, v15
	v_perm_b32 v20, v21, v20, 0x5040100
	ds_store_b16 v44, v19 offset:2
	ds_load_b32 v19, v18 offset:9396
	v_lshlrev_b64 v[31:32], 2, v[5:6]
	v_mov_b32_e32 v14, v6
	ds_store_b32 v18, v20 offset:9720
	ds_load_b32 v20, v15
	v_add_nc_u32_e32 v1, v22, v1
	v_lshlrev_b64 v[13:14], 2, v[13:14]
	v_add_co_u32 v31, s0, s1, v31
	s_delay_alu instid0(VALU_DEP_1) | instskip(NEXT) | instid1(VALU_DEP_3)
	v_add_co_ci_u32_e64 v32, s0, s2, v32, s0
	v_add_co_u32 v13, s0, s1, v13
	global_load_b32 v5, v[31:32], off
	v_add_co_ci_u32_e64 v14, s0, s2, v14, s0
	global_load_b32 v14, v[13:14], off
	v_mov_b32_e32 v13, v6
	s_delay_alu instid0(VALU_DEP_1) | instskip(NEXT) | instid1(VALU_DEP_1)
	v_lshlrev_b64 v[12:13], 2, v[12:13]
	v_add_co_u32 v12, s0, s1, v12
	s_delay_alu instid0(VALU_DEP_1) | instskip(SKIP_2) | instid1(VALU_DEP_1)
	v_add_co_ci_u32_e64 v13, s0, s2, v13, s0
	global_load_b32 v13, v[12:13], off
	v_mov_b32_e32 v12, v6
	v_lshlrev_b64 v[11:12], 2, v[11:12]
	s_delay_alu instid0(VALU_DEP_1) | instskip(NEXT) | instid1(VALU_DEP_1)
	v_add_co_u32 v11, s0, s1, v11
	v_add_co_ci_u32_e64 v12, s0, s2, v12, s0
	global_load_b32 v12, v[11:12], off
	v_mov_b32_e32 v11, v6
	s_delay_alu instid0(VALU_DEP_1) | instskip(NEXT) | instid1(VALU_DEP_1)
	v_lshlrev_b64 v[10:11], 2, v[10:11]
	v_add_co_u32 v10, s0, s1, v10
	s_delay_alu instid0(VALU_DEP_1) | instskip(SKIP_2) | instid1(VALU_DEP_1)
	v_add_co_ci_u32_e64 v11, s0, s2, v11, s0
	global_load_b32 v11, v[10:11], off
	v_mov_b32_e32 v10, v6
	v_lshlrev_b64 v[9:10], 2, v[9:10]
	s_delay_alu instid0(VALU_DEP_1) | instskip(NEXT) | instid1(VALU_DEP_1)
	v_add_co_u32 v9, s0, s1, v9
	v_add_co_ci_u32_e64 v10, s0, s2, v10, s0
	global_load_b32 v10, v[9:10], off
	s_waitcnt lgkmcnt(0)
	v_pk_add_f16 v9, v20, v19 neg_lo:[0,1] neg_hi:[0,1]
	v_pk_add_f16 v19, v20, v19
	s_delay_alu instid0(VALU_DEP_1) | instskip(SKIP_1) | instid1(VALU_DEP_2)
	v_bfi_b32 v20, 0xffff, v9, v19
	v_bfi_b32 v9, 0xffff, v19, v9
	v_pk_mul_f16 v19, v20, 0.5 op_sel_hi:[1,0]
	s_delay_alu instid0(VALU_DEP_2) | instskip(SKIP_1) | instid1(VALU_DEP_1)
	v_pk_mul_f16 v9, v9, 0.5 op_sel_hi:[1,0]
	s_waitcnt vmcnt(5)
	v_pk_fma_f16 v20, v5, v19, v9 op_sel:[1,0,0]
	v_pk_mul_f16 v21, v5, v19 op_sel_hi:[0,1]
	v_pk_fma_f16 v23, v5, v19, v9 op_sel:[1,0,0] neg_lo:[1,0,0] neg_hi:[1,0,0]
	v_pk_fma_f16 v5, v5, v19, v9 op_sel:[1,0,0] neg_lo:[0,0,1] neg_hi:[0,0,1]
	v_mov_b32_e32 v9, v6
	s_delay_alu instid0(VALU_DEP_4) | instskip(SKIP_2) | instid1(VALU_DEP_4)
	v_pk_add_f16 v19, v20, v21 op_sel:[0,1] op_sel_hi:[1,0]
	v_pk_add_f16 v20, v20, v21 op_sel:[0,1] op_sel_hi:[1,0] neg_lo:[0,1] neg_hi:[0,1]
	v_pk_add_f16 v23, v23, v21 op_sel:[0,1] op_sel_hi:[1,0] neg_lo:[0,1] neg_hi:[0,1]
	v_lshlrev_b64 v[8:9], 2, v[8:9]
	v_pk_add_f16 v5, v5, v21 op_sel:[0,1] op_sel_hi:[1,0] neg_lo:[0,1] neg_hi:[0,1]
	s_delay_alu instid0(VALU_DEP_4) | instskip(NEXT) | instid1(VALU_DEP_3)
	v_bfi_b32 v19, 0xffff, v19, v20
	v_add_co_u32 v8, s0, s1, v8
	s_delay_alu instid0(VALU_DEP_3)
	v_bfi_b32 v5, 0xffff, v23, v5
	v_add_co_ci_u32_e64 v9, s0, s2, v9, s0
	ds_store_b32 v15, v19
	ds_store_b32 v18, v5 offset:9396
	ds_load_b32 v5, v1
	ds_load_b32 v15, v18 offset:9072
	global_load_b32 v19, v[8:9], off
	s_waitcnt lgkmcnt(0)
	v_pk_add_f16 v8, v5, v15 neg_lo:[0,1] neg_hi:[0,1]
	v_pk_add_f16 v5, v5, v15
	s_delay_alu instid0(VALU_DEP_1) | instskip(SKIP_1) | instid1(VALU_DEP_2)
	v_bfi_b32 v9, 0xffff, v8, v5
	v_bfi_b32 v5, 0xffff, v5, v8
	v_pk_mul_f16 v8, v9, 0.5 op_sel_hi:[1,0]
	s_delay_alu instid0(VALU_DEP_2) | instskip(SKIP_1) | instid1(VALU_DEP_2)
	v_pk_mul_f16 v5, v5, 0.5 op_sel_hi:[1,0]
	s_waitcnt vmcnt(5)
	v_pk_mul_f16 v15, v14, v8 op_sel_hi:[0,1]
	s_delay_alu instid0(VALU_DEP_2) | instskip(SKIP_3) | instid1(VALU_DEP_4)
	v_pk_fma_f16 v9, v14, v8, v5 op_sel:[1,0,0]
	v_pk_fma_f16 v20, v14, v8, v5 op_sel:[1,0,0] neg_lo:[1,0,0] neg_hi:[1,0,0]
	v_pk_fma_f16 v5, v14, v8, v5 op_sel:[1,0,0] neg_lo:[0,0,1] neg_hi:[0,0,1]
	v_mov_b32_e32 v8, v6
	v_pk_add_f16 v14, v9, v15 op_sel:[0,1] op_sel_hi:[1,0]
	v_pk_add_f16 v9, v9, v15 op_sel:[0,1] op_sel_hi:[1,0] neg_lo:[0,1] neg_hi:[0,1]
	v_pk_add_f16 v20, v20, v15 op_sel:[0,1] op_sel_hi:[1,0] neg_lo:[0,1] neg_hi:[0,1]
	s_delay_alu instid0(VALU_DEP_4) | instskip(SKIP_1) | instid1(VALU_DEP_4)
	v_lshlrev_b64 v[7:8], 2, v[7:8]
	v_pk_add_f16 v5, v5, v15 op_sel:[0,1] op_sel_hi:[1,0] neg_lo:[0,1] neg_hi:[0,1]
	v_bfi_b32 v9, 0xffff, v14, v9
	s_delay_alu instid0(VALU_DEP_3) | instskip(NEXT) | instid1(VALU_DEP_3)
	v_add_co_u32 v7, s0, s1, v7
	v_bfi_b32 v5, 0xffff, v20, v5
	v_add_co_ci_u32_e64 v8, s0, s2, v8, s0
	ds_store_b32 v1, v9
	ds_store_b32 v18, v5 offset:9072
	ds_load_b32 v1, v29
	ds_load_b32 v9, v18 offset:8748
	global_load_b32 v14, v[7:8], off
	v_mov_b32_e32 v5, v6
	v_lshlrev_b64 v[6:7], 2, v[16:17]
	s_delay_alu instid0(VALU_DEP_2) | instskip(NEXT) | instid1(VALU_DEP_2)
	v_lshlrev_b64 v[4:5], 2, v[4:5]
	v_add_co_u32 v8, s0, s1, v6
	s_waitcnt lgkmcnt(0)
	v_pk_add_f16 v15, v1, v9 neg_lo:[0,1] neg_hi:[0,1]
	v_pk_add_f16 v1, v1, v9
	v_add_co_ci_u32_e64 v9, s0, s2, v7, s0
	v_add_co_u32 v4, s0, s1, v4
	s_delay_alu instid0(VALU_DEP_3) | instskip(SKIP_2) | instid1(VALU_DEP_3)
	v_bfi_b32 v16, 0xffff, v15, v1
	v_bfi_b32 v1, 0xffff, v1, v15
	v_add_co_ci_u32_e64 v5, s0, s2, v5, s0
	v_pk_mul_f16 v15, v16, 0.5 op_sel_hi:[1,0]
	s_delay_alu instid0(VALU_DEP_3)
	v_pk_mul_f16 v1, v1, 0.5 op_sel_hi:[1,0]
	s_clause 0x1
	global_load_b32 v16, v[4:5], off
	global_load_b32 v17, v[8:9], off offset:3240
	s_waitcnt vmcnt(7)
	v_pk_mul_f16 v5, v13, v15 op_sel_hi:[0,1]
	v_pk_fma_f16 v4, v13, v15, v1 op_sel:[1,0,0]
	v_pk_fma_f16 v20, v13, v15, v1 op_sel:[1,0,0] neg_lo:[1,0,0] neg_hi:[1,0,0]
	v_pk_fma_f16 v1, v13, v15, v1 op_sel:[1,0,0] neg_lo:[0,0,1] neg_hi:[0,0,1]
	s_delay_alu instid0(VALU_DEP_3) | instskip(SKIP_1) | instid1(VALU_DEP_4)
	v_pk_add_f16 v13, v4, v5 op_sel:[0,1] op_sel_hi:[1,0]
	v_pk_add_f16 v4, v4, v5 op_sel:[0,1] op_sel_hi:[1,0] neg_lo:[0,1] neg_hi:[0,1]
	v_pk_add_f16 v15, v20, v5 op_sel:[0,1] op_sel_hi:[1,0] neg_lo:[0,1] neg_hi:[0,1]
	s_delay_alu instid0(VALU_DEP_4) | instskip(NEXT) | instid1(VALU_DEP_3)
	v_pk_add_f16 v1, v1, v5 op_sel:[0,1] op_sel_hi:[1,0] neg_lo:[0,1] neg_hi:[0,1]
	v_bfi_b32 v4, 0xffff, v13, v4
	s_delay_alu instid0(VALU_DEP_2)
	v_bfi_b32 v1, 0xffff, v15, v1
	ds_store_b32 v29, v4
	ds_store_b32 v18, v1 offset:8748
	ds_load_b32 v1, v28
	ds_load_b32 v4, v18 offset:8424
	s_waitcnt lgkmcnt(0)
	v_pk_add_f16 v5, v1, v4 neg_lo:[0,1] neg_hi:[0,1]
	v_pk_add_f16 v1, v1, v4
	s_delay_alu instid0(VALU_DEP_1) | instskip(SKIP_1) | instid1(VALU_DEP_2)
	v_bfi_b32 v4, 0xffff, v5, v1
	v_bfi_b32 v1, 0xffff, v1, v5
	v_pk_mul_f16 v4, v4, 0.5 op_sel_hi:[1,0]
	s_delay_alu instid0(VALU_DEP_2) | instskip(SKIP_1) | instid1(VALU_DEP_2)
	v_pk_mul_f16 v1, v1, 0.5 op_sel_hi:[1,0]
	s_waitcnt vmcnt(6)
	v_pk_mul_f16 v13, v12, v4 op_sel_hi:[0,1]
	s_delay_alu instid0(VALU_DEP_2) | instskip(SKIP_2) | instid1(VALU_DEP_3)
	v_pk_fma_f16 v5, v12, v4, v1 op_sel:[1,0,0]
	v_pk_fma_f16 v15, v12, v4, v1 op_sel:[1,0,0] neg_lo:[1,0,0] neg_hi:[1,0,0]
	v_pk_fma_f16 v1, v12, v4, v1 op_sel:[1,0,0] neg_lo:[0,0,1] neg_hi:[0,0,1]
	v_pk_add_f16 v4, v5, v13 op_sel:[0,1] op_sel_hi:[1,0]
	v_pk_add_f16 v5, v5, v13 op_sel:[0,1] op_sel_hi:[1,0] neg_lo:[0,1] neg_hi:[0,1]
	s_delay_alu instid0(VALU_DEP_4) | instskip(NEXT) | instid1(VALU_DEP_4)
	v_pk_add_f16 v12, v15, v13 op_sel:[0,1] op_sel_hi:[1,0] neg_lo:[0,1] neg_hi:[0,1]
	v_pk_add_f16 v1, v1, v13 op_sel:[0,1] op_sel_hi:[1,0] neg_lo:[0,1] neg_hi:[0,1]
	s_delay_alu instid0(VALU_DEP_3) | instskip(NEXT) | instid1(VALU_DEP_2)
	v_bfi_b32 v4, 0xffff, v4, v5
	v_bfi_b32 v1, 0xffff, v12, v1
	ds_store_b32 v28, v4
	ds_store_b32 v18, v1 offset:8424
	ds_load_b32 v1, v27
	ds_load_b32 v4, v18 offset:8100
	s_waitcnt lgkmcnt(0)
	v_pk_add_f16 v5, v1, v4 neg_lo:[0,1] neg_hi:[0,1]
	v_pk_add_f16 v1, v1, v4
	s_delay_alu instid0(VALU_DEP_1) | instskip(SKIP_1) | instid1(VALU_DEP_2)
	v_bfi_b32 v4, 0xffff, v5, v1
	v_bfi_b32 v1, 0xffff, v1, v5
	v_pk_mul_f16 v4, v4, 0.5 op_sel_hi:[1,0]
	s_delay_alu instid0(VALU_DEP_2) | instskip(SKIP_1) | instid1(VALU_DEP_2)
	v_pk_mul_f16 v1, v1, 0.5 op_sel_hi:[1,0]
	s_waitcnt vmcnt(5)
	v_pk_mul_f16 v12, v11, v4 op_sel_hi:[0,1]
	s_delay_alu instid0(VALU_DEP_2) | instskip(SKIP_2) | instid1(VALU_DEP_3)
	v_pk_fma_f16 v5, v11, v4, v1 op_sel:[1,0,0]
	v_pk_fma_f16 v13, v11, v4, v1 op_sel:[1,0,0] neg_lo:[1,0,0] neg_hi:[1,0,0]
	v_pk_fma_f16 v1, v11, v4, v1 op_sel:[1,0,0] neg_lo:[0,0,1] neg_hi:[0,0,1]
	v_pk_add_f16 v4, v5, v12 op_sel:[0,1] op_sel_hi:[1,0]
	v_pk_add_f16 v5, v5, v12 op_sel:[0,1] op_sel_hi:[1,0] neg_lo:[0,1] neg_hi:[0,1]
	s_delay_alu instid0(VALU_DEP_4) | instskip(NEXT) | instid1(VALU_DEP_4)
	v_pk_add_f16 v11, v13, v12 op_sel:[0,1] op_sel_hi:[1,0] neg_lo:[0,1] neg_hi:[0,1]
	v_pk_add_f16 v1, v1, v12 op_sel:[0,1] op_sel_hi:[1,0] neg_lo:[0,1] neg_hi:[0,1]
	s_delay_alu instid0(VALU_DEP_3) | instskip(NEXT) | instid1(VALU_DEP_2)
	v_bfi_b32 v4, 0xffff, v4, v5
	v_bfi_b32 v1, 0xffff, v11, v1
	ds_store_b32 v27, v4
	ds_store_b32 v18, v1 offset:8100
	ds_load_b32 v1, v26
	ds_load_b32 v4, v18 offset:7776
	global_load_b32 v11, v[8:9], off offset:3564
	s_waitcnt lgkmcnt(0)
	v_pk_add_f16 v5, v1, v4 neg_lo:[0,1] neg_hi:[0,1]
	v_pk_add_f16 v1, v1, v4
	s_delay_alu instid0(VALU_DEP_1) | instskip(SKIP_1) | instid1(VALU_DEP_2)
	v_bfi_b32 v4, 0xffff, v5, v1
	v_bfi_b32 v1, 0xffff, v1, v5
	v_pk_mul_f16 v4, v4, 0.5 op_sel_hi:[1,0]
	s_delay_alu instid0(VALU_DEP_2) | instskip(SKIP_1) | instid1(VALU_DEP_2)
	v_pk_mul_f16 v1, v1, 0.5 op_sel_hi:[1,0]
	s_waitcnt vmcnt(5)
	v_pk_mul_f16 v12, v10, v4 op_sel_hi:[0,1]
	s_delay_alu instid0(VALU_DEP_2) | instskip(SKIP_2) | instid1(VALU_DEP_3)
	v_pk_fma_f16 v5, v10, v4, v1 op_sel:[1,0,0]
	v_pk_fma_f16 v13, v10, v4, v1 op_sel:[1,0,0] neg_lo:[1,0,0] neg_hi:[1,0,0]
	v_pk_fma_f16 v1, v10, v4, v1 op_sel:[1,0,0] neg_lo:[0,0,1] neg_hi:[0,0,1]
	v_pk_add_f16 v4, v5, v12 op_sel:[0,1] op_sel_hi:[1,0]
	v_pk_add_f16 v5, v5, v12 op_sel:[0,1] op_sel_hi:[1,0] neg_lo:[0,1] neg_hi:[0,1]
	s_delay_alu instid0(VALU_DEP_4) | instskip(NEXT) | instid1(VALU_DEP_4)
	v_pk_add_f16 v10, v13, v12 op_sel:[0,1] op_sel_hi:[1,0] neg_lo:[0,1] neg_hi:[0,1]
	v_pk_add_f16 v1, v1, v12 op_sel:[0,1] op_sel_hi:[1,0] neg_lo:[0,1] neg_hi:[0,1]
	s_delay_alu instid0(VALU_DEP_3) | instskip(NEXT) | instid1(VALU_DEP_2)
	v_bfi_b32 v4, 0xffff, v4, v5
	v_bfi_b32 v1, 0xffff, v10, v1
	ds_store_b32 v26, v4
	ds_store_b32 v18, v1 offset:7776
	ds_load_b32 v1, v25
	ds_load_b32 v4, v18 offset:7452
	global_load_b32 v10, v[8:9], off offset:3888
	s_waitcnt lgkmcnt(0)
	v_pk_add_f16 v5, v1, v4 neg_lo:[0,1] neg_hi:[0,1]
	v_pk_add_f16 v1, v1, v4
	s_delay_alu instid0(VALU_DEP_1) | instskip(SKIP_1) | instid1(VALU_DEP_2)
	v_bfi_b32 v4, 0xffff, v5, v1
	v_bfi_b32 v1, 0xffff, v1, v5
	v_pk_mul_f16 v4, v4, 0.5 op_sel_hi:[1,0]
	s_delay_alu instid0(VALU_DEP_2) | instskip(SKIP_1) | instid1(VALU_DEP_1)
	v_pk_mul_f16 v1, v1, 0.5 op_sel_hi:[1,0]
	s_waitcnt vmcnt(5)
	v_pk_fma_f16 v5, v19, v4, v1 op_sel:[1,0,0]
	v_pk_mul_f16 v12, v19, v4 op_sel_hi:[0,1]
	v_pk_fma_f16 v13, v19, v4, v1 op_sel:[1,0,0] neg_lo:[1,0,0] neg_hi:[1,0,0]
	v_pk_fma_f16 v1, v19, v4, v1 op_sel:[1,0,0] neg_lo:[0,0,1] neg_hi:[0,0,1]
	s_delay_alu instid0(VALU_DEP_3) | instskip(SKIP_1) | instid1(VALU_DEP_4)
	v_pk_add_f16 v4, v5, v12 op_sel:[0,1] op_sel_hi:[1,0]
	v_pk_add_f16 v5, v5, v12 op_sel:[0,1] op_sel_hi:[1,0] neg_lo:[0,1] neg_hi:[0,1]
	v_pk_add_f16 v13, v13, v12 op_sel:[0,1] op_sel_hi:[1,0] neg_lo:[0,1] neg_hi:[0,1]
	s_delay_alu instid0(VALU_DEP_4) | instskip(NEXT) | instid1(VALU_DEP_3)
	v_pk_add_f16 v1, v1, v12 op_sel:[0,1] op_sel_hi:[1,0] neg_lo:[0,1] neg_hi:[0,1]
	v_bfi_b32 v4, 0xffff, v4, v5
	s_delay_alu instid0(VALU_DEP_2) | instskip(SKIP_3) | instid1(VALU_DEP_1)
	v_bfi_b32 v1, 0xffff, v13, v1
	ds_store_b32 v25, v4
	ds_store_b32 v18, v1 offset:7452
	v_add_co_u32 v4, s0, 0x1000, v8
	v_add_co_ci_u32_e64 v5, s0, 0, v9, s0
	ds_load_b32 v1, v24
	ds_load_b32 v12, v18 offset:7128
	global_load_b32 v8, v[4:5], off offset:116
	s_waitcnt lgkmcnt(0)
	v_pk_add_f16 v9, v1, v12 neg_lo:[0,1] neg_hi:[0,1]
	v_pk_add_f16 v1, v1, v12
	s_delay_alu instid0(VALU_DEP_1) | instskip(SKIP_1) | instid1(VALU_DEP_2)
	v_bfi_b32 v12, 0xffff, v9, v1
	v_bfi_b32 v1, 0xffff, v1, v9
	v_pk_mul_f16 v9, v12, 0.5 op_sel_hi:[1,0]
	s_delay_alu instid0(VALU_DEP_2) | instskip(SKIP_1) | instid1(VALU_DEP_2)
	v_pk_mul_f16 v1, v1, 0.5 op_sel_hi:[1,0]
	s_waitcnt vmcnt(5)
	v_pk_mul_f16 v13, v14, v9 op_sel_hi:[0,1]
	s_delay_alu instid0(VALU_DEP_2) | instskip(SKIP_2) | instid1(VALU_DEP_3)
	v_pk_fma_f16 v12, v14, v9, v1 op_sel:[1,0,0]
	v_pk_fma_f16 v15, v14, v9, v1 op_sel:[1,0,0] neg_lo:[1,0,0] neg_hi:[1,0,0]
	v_pk_fma_f16 v1, v14, v9, v1 op_sel:[1,0,0] neg_lo:[0,0,1] neg_hi:[0,0,1]
	v_pk_add_f16 v9, v12, v13 op_sel:[0,1] op_sel_hi:[1,0]
	v_pk_add_f16 v12, v12, v13 op_sel:[0,1] op_sel_hi:[1,0] neg_lo:[0,1] neg_hi:[0,1]
	s_delay_alu instid0(VALU_DEP_4) | instskip(NEXT) | instid1(VALU_DEP_4)
	v_pk_add_f16 v14, v15, v13 op_sel:[0,1] op_sel_hi:[1,0] neg_lo:[0,1] neg_hi:[0,1]
	v_pk_add_f16 v1, v1, v13 op_sel:[0,1] op_sel_hi:[1,0] neg_lo:[0,1] neg_hi:[0,1]
	s_delay_alu instid0(VALU_DEP_3) | instskip(NEXT) | instid1(VALU_DEP_2)
	v_bfi_b32 v9, 0xffff, v9, v12
	v_bfi_b32 v1, 0xffff, v14, v1
	ds_store_b32 v24, v9
	ds_store_b32 v18, v1 offset:7128
	ds_load_b32 v1, v30
	ds_load_b32 v9, v18 offset:6804
	global_load_b32 v4, v[4:5], off offset:440
	s_waitcnt lgkmcnt(0)
	v_pk_add_f16 v5, v1, v9 neg_lo:[0,1] neg_hi:[0,1]
	v_pk_add_f16 v1, v1, v9
	s_delay_alu instid0(VALU_DEP_1) | instskip(SKIP_1) | instid1(VALU_DEP_2)
	v_bfi_b32 v9, 0xffff, v5, v1
	v_bfi_b32 v1, 0xffff, v1, v5
	v_pk_mul_f16 v5, v9, 0.5 op_sel_hi:[1,0]
	s_delay_alu instid0(VALU_DEP_2) | instskip(SKIP_1) | instid1(VALU_DEP_2)
	v_pk_mul_f16 v1, v1, 0.5 op_sel_hi:[1,0]
	s_waitcnt vmcnt(5)
	v_pk_mul_f16 v12, v16, v5 op_sel_hi:[0,1]
	s_delay_alu instid0(VALU_DEP_2) | instskip(SKIP_2) | instid1(VALU_DEP_3)
	v_pk_fma_f16 v9, v16, v5, v1 op_sel:[1,0,0]
	v_pk_fma_f16 v13, v16, v5, v1 op_sel:[1,0,0] neg_lo:[1,0,0] neg_hi:[1,0,0]
	v_pk_fma_f16 v1, v16, v5, v1 op_sel:[1,0,0] neg_lo:[0,0,1] neg_hi:[0,0,1]
	v_pk_add_f16 v5, v9, v12 op_sel:[0,1] op_sel_hi:[1,0]
	v_pk_add_f16 v9, v9, v12 op_sel:[0,1] op_sel_hi:[1,0] neg_lo:[0,1] neg_hi:[0,1]
	s_delay_alu instid0(VALU_DEP_4) | instskip(NEXT) | instid1(VALU_DEP_4)
	v_pk_add_f16 v13, v13, v12 op_sel:[0,1] op_sel_hi:[1,0] neg_lo:[0,1] neg_hi:[0,1]
	v_pk_add_f16 v1, v1, v12 op_sel:[0,1] op_sel_hi:[1,0] neg_lo:[0,1] neg_hi:[0,1]
	s_delay_alu instid0(VALU_DEP_3) | instskip(NEXT) | instid1(VALU_DEP_2)
	v_bfi_b32 v5, 0xffff, v5, v9
	v_bfi_b32 v1, 0xffff, v13, v1
	ds_store_b32 v30, v5
	ds_store_b32 v18, v1 offset:6804
	ds_load_b32 v1, v44 offset:3240
	ds_load_b32 v5, v18 offset:6480
	s_waitcnt lgkmcnt(0)
	v_pk_add_f16 v9, v1, v5 neg_lo:[0,1] neg_hi:[0,1]
	v_pk_add_f16 v1, v1, v5
	s_delay_alu instid0(VALU_DEP_1) | instskip(SKIP_1) | instid1(VALU_DEP_2)
	v_bfi_b32 v5, 0xffff, v9, v1
	v_bfi_b32 v1, 0xffff, v1, v9
	v_pk_mul_f16 v5, v5, 0.5 op_sel_hi:[1,0]
	s_delay_alu instid0(VALU_DEP_2) | instskip(SKIP_1) | instid1(VALU_DEP_2)
	v_pk_mul_f16 v1, v1, 0.5 op_sel_hi:[1,0]
	s_waitcnt vmcnt(4)
	v_pk_mul_f16 v12, v17, v5 op_sel_hi:[0,1]
	s_delay_alu instid0(VALU_DEP_2) | instskip(SKIP_2) | instid1(VALU_DEP_3)
	v_pk_fma_f16 v9, v17, v5, v1 op_sel:[1,0,0]
	v_pk_fma_f16 v13, v17, v5, v1 op_sel:[1,0,0] neg_lo:[1,0,0] neg_hi:[1,0,0]
	v_pk_fma_f16 v1, v17, v5, v1 op_sel:[1,0,0] neg_lo:[0,0,1] neg_hi:[0,0,1]
	v_pk_add_f16 v5, v9, v12 op_sel:[0,1] op_sel_hi:[1,0]
	v_pk_add_f16 v9, v9, v12 op_sel:[0,1] op_sel_hi:[1,0] neg_lo:[0,1] neg_hi:[0,1]
	s_delay_alu instid0(VALU_DEP_4) | instskip(NEXT) | instid1(VALU_DEP_4)
	v_pk_add_f16 v13, v13, v12 op_sel:[0,1] op_sel_hi:[1,0] neg_lo:[0,1] neg_hi:[0,1]
	v_pk_add_f16 v1, v1, v12 op_sel:[0,1] op_sel_hi:[1,0] neg_lo:[0,1] neg_hi:[0,1]
	s_delay_alu instid0(VALU_DEP_3) | instskip(NEXT) | instid1(VALU_DEP_2)
	v_bfi_b32 v5, 0xffff, v5, v9
	v_bfi_b32 v1, 0xffff, v13, v1
	ds_store_b32 v44, v5 offset:3240
	ds_store_b32 v18, v1 offset:6480
	ds_load_b32 v1, v44 offset:3564
	ds_load_b32 v5, v18 offset:6156
	s_waitcnt lgkmcnt(0)
	v_pk_add_f16 v9, v1, v5 neg_lo:[0,1] neg_hi:[0,1]
	v_pk_add_f16 v1, v1, v5
	s_delay_alu instid0(VALU_DEP_1) | instskip(SKIP_1) | instid1(VALU_DEP_2)
	v_bfi_b32 v5, 0xffff, v9, v1
	v_bfi_b32 v1, 0xffff, v1, v9
	v_pk_mul_f16 v5, v5, 0.5 op_sel_hi:[1,0]
	s_delay_alu instid0(VALU_DEP_2) | instskip(SKIP_1) | instid1(VALU_DEP_2)
	v_pk_mul_f16 v1, v1, 0.5 op_sel_hi:[1,0]
	s_waitcnt vmcnt(3)
	v_pk_mul_f16 v12, v11, v5 op_sel_hi:[0,1]
	s_delay_alu instid0(VALU_DEP_2) | instskip(SKIP_2) | instid1(VALU_DEP_3)
	v_pk_fma_f16 v9, v11, v5, v1 op_sel:[1,0,0]
	v_pk_fma_f16 v13, v11, v5, v1 op_sel:[1,0,0] neg_lo:[1,0,0] neg_hi:[1,0,0]
	v_pk_fma_f16 v1, v11, v5, v1 op_sel:[1,0,0] neg_lo:[0,0,1] neg_hi:[0,0,1]
	v_pk_add_f16 v5, v9, v12 op_sel:[0,1] op_sel_hi:[1,0]
	v_pk_add_f16 v9, v9, v12 op_sel:[0,1] op_sel_hi:[1,0] neg_lo:[0,1] neg_hi:[0,1]
	s_delay_alu instid0(VALU_DEP_4) | instskip(NEXT) | instid1(VALU_DEP_4)
	v_pk_add_f16 v11, v13, v12 op_sel:[0,1] op_sel_hi:[1,0] neg_lo:[0,1] neg_hi:[0,1]
	v_pk_add_f16 v1, v1, v12 op_sel:[0,1] op_sel_hi:[1,0] neg_lo:[0,1] neg_hi:[0,1]
	s_delay_alu instid0(VALU_DEP_3) | instskip(NEXT) | instid1(VALU_DEP_2)
	v_bfi_b32 v5, 0xffff, v5, v9
	v_bfi_b32 v1, 0xffff, v11, v1
	ds_store_b32 v44, v5 offset:3564
	;; [unrolled: 27-line block ×3, first 2 shown]
	ds_store_b32 v18, v1 offset:5832
	ds_load_b32 v1, v44 offset:4212
	ds_load_b32 v5, v18 offset:5508
	s_waitcnt lgkmcnt(0)
	v_pk_add_f16 v9, v1, v5 neg_lo:[0,1] neg_hi:[0,1]
	v_pk_add_f16 v1, v1, v5
	s_delay_alu instid0(VALU_DEP_1) | instskip(SKIP_1) | instid1(VALU_DEP_2)
	v_bfi_b32 v5, 0xffff, v9, v1
	v_bfi_b32 v1, 0xffff, v1, v9
	v_pk_mul_f16 v5, v5, 0.5 op_sel_hi:[1,0]
	s_delay_alu instid0(VALU_DEP_2) | instskip(SKIP_1) | instid1(VALU_DEP_1)
	v_pk_mul_f16 v1, v1, 0.5 op_sel_hi:[1,0]
	s_waitcnt vmcnt(1)
	v_pk_fma_f16 v9, v8, v5, v1 op_sel:[1,0,0]
	v_pk_mul_f16 v10, v8, v5 op_sel_hi:[0,1]
	v_pk_fma_f16 v11, v8, v5, v1 op_sel:[1,0,0] neg_lo:[1,0,0] neg_hi:[1,0,0]
	v_pk_fma_f16 v1, v8, v5, v1 op_sel:[1,0,0] neg_lo:[0,0,1] neg_hi:[0,0,1]
	s_delay_alu instid0(VALU_DEP_3) | instskip(SKIP_1) | instid1(VALU_DEP_4)
	v_pk_add_f16 v5, v9, v10 op_sel:[0,1] op_sel_hi:[1,0]
	v_pk_add_f16 v8, v9, v10 op_sel:[0,1] op_sel_hi:[1,0] neg_lo:[0,1] neg_hi:[0,1]
	v_pk_add_f16 v9, v11, v10 op_sel:[0,1] op_sel_hi:[1,0] neg_lo:[0,1] neg_hi:[0,1]
	s_delay_alu instid0(VALU_DEP_4) | instskip(NEXT) | instid1(VALU_DEP_3)
	v_pk_add_f16 v1, v1, v10 op_sel:[0,1] op_sel_hi:[1,0] neg_lo:[0,1] neg_hi:[0,1]
	v_bfi_b32 v5, 0xffff, v5, v8
	s_delay_alu instid0(VALU_DEP_2)
	v_bfi_b32 v1, 0xffff, v9, v1
	ds_store_b32 v44, v5 offset:4212
	ds_store_b32 v18, v1 offset:5508
	ds_load_b32 v1, v44 offset:4536
	ds_load_b32 v5, v18 offset:5184
	s_waitcnt lgkmcnt(0)
	v_pk_add_f16 v8, v1, v5 neg_lo:[0,1] neg_hi:[0,1]
	v_pk_add_f16 v1, v1, v5
	s_delay_alu instid0(VALU_DEP_1) | instskip(SKIP_1) | instid1(VALU_DEP_2)
	v_bfi_b32 v5, 0xffff, v8, v1
	v_bfi_b32 v1, 0xffff, v1, v8
	v_pk_mul_f16 v5, v5, 0.5 op_sel_hi:[1,0]
	s_delay_alu instid0(VALU_DEP_2) | instskip(SKIP_1) | instid1(VALU_DEP_2)
	v_pk_mul_f16 v1, v1, 0.5 op_sel_hi:[1,0]
	s_waitcnt vmcnt(0)
	v_pk_mul_f16 v9, v4, v5 op_sel_hi:[0,1]
	s_delay_alu instid0(VALU_DEP_2) | instskip(SKIP_2) | instid1(VALU_DEP_3)
	v_pk_fma_f16 v8, v4, v5, v1 op_sel:[1,0,0]
	v_pk_fma_f16 v10, v4, v5, v1 op_sel:[1,0,0] neg_lo:[1,0,0] neg_hi:[1,0,0]
	v_pk_fma_f16 v1, v4, v5, v1 op_sel:[1,0,0] neg_lo:[0,0,1] neg_hi:[0,0,1]
	v_pk_add_f16 v4, v8, v9 op_sel:[0,1] op_sel_hi:[1,0]
	v_pk_add_f16 v5, v8, v9 op_sel:[0,1] op_sel_hi:[1,0] neg_lo:[0,1] neg_hi:[0,1]
	s_delay_alu instid0(VALU_DEP_4) | instskip(NEXT) | instid1(VALU_DEP_4)
	v_pk_add_f16 v8, v10, v9 op_sel:[0,1] op_sel_hi:[1,0] neg_lo:[0,1] neg_hi:[0,1]
	v_pk_add_f16 v1, v1, v9 op_sel:[0,1] op_sel_hi:[1,0] neg_lo:[0,1] neg_hi:[0,1]
	s_delay_alu instid0(VALU_DEP_3) | instskip(NEXT) | instid1(VALU_DEP_2)
	v_bfi_b32 v4, 0xffff, v4, v5
	v_bfi_b32 v1, 0xffff, v8, v1
	ds_store_b32 v44, v4 offset:4536
	ds_store_b32 v18, v1 offset:5184
	s_waitcnt lgkmcnt(0)
	s_barrier
	buffer_gl0_inv
	s_and_saveexec_b32 s0, vcc_lo
	s_cbranch_execz .LBB0_20
; %bb.18:
	v_add_nc_u32_e32 v1, 0x400, v44
	v_add_nc_u32_e32 v12, 0x600, v44
	ds_load_2addr_b32 v[4:5], v44 offset1:81
	v_add_nc_u32_e32 v14, 0xc00, v44
	ds_load_2addr_b32 v[8:9], v44 offset0:162 offset1:243
	ds_load_2addr_b32 v[10:11], v1 offset0:68 offset1:149
	;; [unrolled: 1-line block ×3, first 2 shown]
	v_add_co_u32 v1, vcc_lo, s8, v2
	v_add_co_ci_u32_e32 v2, vcc_lo, s9, v3, vcc_lo
	v_add_nc_u32_e32 v3, 0x800, v44
	s_delay_alu instid0(VALU_DEP_3) | instskip(NEXT) | instid1(VALU_DEP_3)
	v_add_co_u32 v6, vcc_lo, v1, v6
	v_add_co_ci_u32_e32 v7, vcc_lo, v2, v7, vcc_lo
	v_add_nc_u32_e32 v15, 0xe00, v44
	v_add_nc_u32_e32 v16, 0x1000, v44
	;; [unrolled: 1-line block ×7, first 2 shown]
	s_waitcnt lgkmcnt(3)
	s_clause 0x1
	global_store_b32 v[6:7], v4, off
	global_store_b32 v[6:7], v5, off offset:324
	s_waitcnt lgkmcnt(2)
	s_clause 0x1
	global_store_b32 v[6:7], v8, off offset:648
	global_store_b32 v[6:7], v9, off offset:972
	s_waitcnt lgkmcnt(1)
	s_clause 0x1
	global_store_b32 v[6:7], v10, off offset:1296
	;; [unrolled: 4-line block ×3, first 2 shown]
	global_store_b32 v[6:7], v13, off offset:2268
	v_add_nc_u32_e32 v5, 0x1400, v44
	ds_load_2addr_b32 v[3:4], v3 offset0:136 offset1:217
	ds_load_2addr_b32 v[8:9], v14 offset0:42 offset1:123
	;; [unrolled: 1-line block ×4, first 2 shown]
	v_add_co_u32 v14, vcc_lo, 0x1000, v6
	ds_load_2addr_b32 v[16:17], v5 offset0:16 offset1:97
	ds_load_2addr_b32 v[18:19], v18 offset0:50 offset1:131
	v_add_nc_u32_e32 v5, 0x1800, v44
	v_add_co_ci_u32_e32 v15, vcc_lo, 0, v7, vcc_lo
	ds_load_2addr_b32 v[20:21], v5 offset0:84 offset1:165
	ds_load_2addr_b32 v[22:23], v22 offset0:118 offset1:199
	;; [unrolled: 1-line block ×5, first 2 shown]
	s_waitcnt lgkmcnt(10)
	s_clause 0x1
	global_store_b32 v[6:7], v3, off offset:2592
	global_store_b32 v[6:7], v4, off offset:2916
	s_waitcnt lgkmcnt(9)
	s_clause 0x1
	global_store_b32 v[6:7], v8, off offset:3240
	global_store_b32 v[6:7], v9, off offset:3564
	;; [unrolled: 4-line block ×4, first 2 shown]
	v_add_co_u32 v3, vcc_lo, 0x2000, v6
	v_add_co_ci_u32_e32 v4, vcc_lo, 0, v7, vcc_lo
	v_cmp_eq_u32_e32 vcc_lo, 0x50, v0
	s_waitcnt lgkmcnt(6)
	s_clause 0x1
	global_store_b32 v[14:15], v16, off offset:1088
	global_store_b32 v[14:15], v17, off offset:1412
	s_waitcnt lgkmcnt(5)
	s_clause 0x1
	global_store_b32 v[14:15], v18, off offset:1736
	global_store_b32 v[14:15], v19, off offset:2060
	;; [unrolled: 4-line block ×7, first 2 shown]
	s_and_b32 exec_lo, exec_lo, vcc_lo
	s_cbranch_execz .LBB0_20
; %bb.19:
	v_mov_b32_e32 v0, 0
	ds_load_b32 v3, v0 offset:9720
	v_add_co_u32 v0, vcc_lo, 0x2000, v1
	v_add_co_ci_u32_e32 v1, vcc_lo, 0, v2, vcc_lo
	s_waitcnt lgkmcnt(0)
	global_store_b32 v[0:1], v3, off offset:1528
.LBB0_20:
	s_nop 0
	s_sendmsg sendmsg(MSG_DEALLOC_VGPRS)
	s_endpgm
	.section	.rodata,"a",@progbits
	.p2align	6, 0x0
	.amdhsa_kernel fft_rtc_back_len2430_factors_10_3_3_3_3_3_wgs_81_tpt_81_halfLds_half_ip_CI_unitstride_sbrr_R2C_dirReg
		.amdhsa_group_segment_fixed_size 0
		.amdhsa_private_segment_fixed_size 0
		.amdhsa_kernarg_size 88
		.amdhsa_user_sgpr_count 15
		.amdhsa_user_sgpr_dispatch_ptr 0
		.amdhsa_user_sgpr_queue_ptr 0
		.amdhsa_user_sgpr_kernarg_segment_ptr 1
		.amdhsa_user_sgpr_dispatch_id 0
		.amdhsa_user_sgpr_private_segment_size 0
		.amdhsa_wavefront_size32 1
		.amdhsa_uses_dynamic_stack 0
		.amdhsa_enable_private_segment 0
		.amdhsa_system_sgpr_workgroup_id_x 1
		.amdhsa_system_sgpr_workgroup_id_y 0
		.amdhsa_system_sgpr_workgroup_id_z 0
		.amdhsa_system_sgpr_workgroup_info 0
		.amdhsa_system_vgpr_workitem_id 0
		.amdhsa_next_free_vgpr 115
		.amdhsa_next_free_sgpr 21
		.amdhsa_reserve_vcc 1
		.amdhsa_float_round_mode_32 0
		.amdhsa_float_round_mode_16_64 0
		.amdhsa_float_denorm_mode_32 3
		.amdhsa_float_denorm_mode_16_64 3
		.amdhsa_dx10_clamp 1
		.amdhsa_ieee_mode 1
		.amdhsa_fp16_overflow 0
		.amdhsa_workgroup_processor_mode 1
		.amdhsa_memory_ordered 1
		.amdhsa_forward_progress 0
		.amdhsa_shared_vgpr_count 0
		.amdhsa_exception_fp_ieee_invalid_op 0
		.amdhsa_exception_fp_denorm_src 0
		.amdhsa_exception_fp_ieee_div_zero 0
		.amdhsa_exception_fp_ieee_overflow 0
		.amdhsa_exception_fp_ieee_underflow 0
		.amdhsa_exception_fp_ieee_inexact 0
		.amdhsa_exception_int_div_zero 0
	.end_amdhsa_kernel
	.text
.Lfunc_end0:
	.size	fft_rtc_back_len2430_factors_10_3_3_3_3_3_wgs_81_tpt_81_halfLds_half_ip_CI_unitstride_sbrr_R2C_dirReg, .Lfunc_end0-fft_rtc_back_len2430_factors_10_3_3_3_3_3_wgs_81_tpt_81_halfLds_half_ip_CI_unitstride_sbrr_R2C_dirReg
                                        ; -- End function
	.section	.AMDGPU.csdata,"",@progbits
; Kernel info:
; codeLenInByte = 23624
; NumSgprs: 23
; NumVgprs: 115
; ScratchSize: 0
; MemoryBound: 0
; FloatMode: 240
; IeeeMode: 1
; LDSByteSize: 0 bytes/workgroup (compile time only)
; SGPRBlocks: 2
; VGPRBlocks: 14
; NumSGPRsForWavesPerEU: 23
; NumVGPRsForWavesPerEU: 115
; Occupancy: 12
; WaveLimiterHint : 1
; COMPUTE_PGM_RSRC2:SCRATCH_EN: 0
; COMPUTE_PGM_RSRC2:USER_SGPR: 15
; COMPUTE_PGM_RSRC2:TRAP_HANDLER: 0
; COMPUTE_PGM_RSRC2:TGID_X_EN: 1
; COMPUTE_PGM_RSRC2:TGID_Y_EN: 0
; COMPUTE_PGM_RSRC2:TGID_Z_EN: 0
; COMPUTE_PGM_RSRC2:TIDIG_COMP_CNT: 0
	.text
	.p2alignl 7, 3214868480
	.fill 96, 4, 3214868480
	.type	__hip_cuid_c3ffe1dccb059224,@object ; @__hip_cuid_c3ffe1dccb059224
	.section	.bss,"aw",@nobits
	.globl	__hip_cuid_c3ffe1dccb059224
__hip_cuid_c3ffe1dccb059224:
	.byte	0                               ; 0x0
	.size	__hip_cuid_c3ffe1dccb059224, 1

	.ident	"AMD clang version 19.0.0git (https://github.com/RadeonOpenCompute/llvm-project roc-6.4.0 25133 c7fe45cf4b819c5991fe208aaa96edf142730f1d)"
	.section	".note.GNU-stack","",@progbits
	.addrsig
	.addrsig_sym __hip_cuid_c3ffe1dccb059224
	.amdgpu_metadata
---
amdhsa.kernels:
  - .args:
      - .actual_access:  read_only
        .address_space:  global
        .offset:         0
        .size:           8
        .value_kind:     global_buffer
      - .offset:         8
        .size:           8
        .value_kind:     by_value
      - .actual_access:  read_only
        .address_space:  global
        .offset:         16
        .size:           8
        .value_kind:     global_buffer
      - .actual_access:  read_only
        .address_space:  global
        .offset:         24
        .size:           8
        .value_kind:     global_buffer
      - .offset:         32
        .size:           8
        .value_kind:     by_value
      - .actual_access:  read_only
        .address_space:  global
        .offset:         40
        .size:           8
        .value_kind:     global_buffer
      - .actual_access:  read_only
        .address_space:  global
        .offset:         48
        .size:           8
        .value_kind:     global_buffer
      - .offset:         56
        .size:           4
        .value_kind:     by_value
      - .actual_access:  read_only
        .address_space:  global
        .offset:         64
        .size:           8
        .value_kind:     global_buffer
      - .actual_access:  read_only
        .address_space:  global
        .offset:         72
        .size:           8
        .value_kind:     global_buffer
      - .address_space:  global
        .offset:         80
        .size:           8
        .value_kind:     global_buffer
    .group_segment_fixed_size: 0
    .kernarg_segment_align: 8
    .kernarg_segment_size: 88
    .language:       OpenCL C
    .language_version:
      - 2
      - 0
    .max_flat_workgroup_size: 81
    .name:           fft_rtc_back_len2430_factors_10_3_3_3_3_3_wgs_81_tpt_81_halfLds_half_ip_CI_unitstride_sbrr_R2C_dirReg
    .private_segment_fixed_size: 0
    .sgpr_count:     23
    .sgpr_spill_count: 0
    .symbol:         fft_rtc_back_len2430_factors_10_3_3_3_3_3_wgs_81_tpt_81_halfLds_half_ip_CI_unitstride_sbrr_R2C_dirReg.kd
    .uniform_work_group_size: 1
    .uses_dynamic_stack: false
    .vgpr_count:     115
    .vgpr_spill_count: 0
    .wavefront_size: 32
    .workgroup_processor_mode: 1
amdhsa.target:   amdgcn-amd-amdhsa--gfx1100
amdhsa.version:
  - 1
  - 2
...

	.end_amdgpu_metadata
